;; amdgpu-corpus repo=pytorch/pytorch kind=compiled arch=gfx1201 opt=O3
	.amdgcn_target "amdgcn-amd-amdhsa--gfx1201"
	.amdhsa_code_object_version 6
	.section	.text._ZN2at6native12_GLOBAL__N_125multi_tensor_apply_kernelINS1_18TensorListMetadataILi1EEENS1_27BinaryOpScalarTensorFunctorIhLi1ELi1ELi0EEEJSt4plusIhEPhhEEEvT_T0_DpT1_,"axG",@progbits,_ZN2at6native12_GLOBAL__N_125multi_tensor_apply_kernelINS1_18TensorListMetadataILi1EEENS1_27BinaryOpScalarTensorFunctorIhLi1ELi1ELi0EEEJSt4plusIhEPhhEEEvT_T0_DpT1_,comdat
	.globl	_ZN2at6native12_GLOBAL__N_125multi_tensor_apply_kernelINS1_18TensorListMetadataILi1EEENS1_27BinaryOpScalarTensorFunctorIhLi1ELi1ELi0EEEJSt4plusIhEPhhEEEvT_T0_DpT1_ ; -- Begin function _ZN2at6native12_GLOBAL__N_125multi_tensor_apply_kernelINS1_18TensorListMetadataILi1EEENS1_27BinaryOpScalarTensorFunctorIhLi1ELi1ELi0EEEJSt4plusIhEPhhEEEvT_T0_DpT1_
	.p2align	8
	.type	_ZN2at6native12_GLOBAL__N_125multi_tensor_apply_kernelINS1_18TensorListMetadataILi1EEENS1_27BinaryOpScalarTensorFunctorIhLi1ELi1ELi0EEEJSt4plusIhEPhhEEEvT_T0_DpT1_,@function
_ZN2at6native12_GLOBAL__N_125multi_tensor_apply_kernelINS1_18TensorListMetadataILi1EEENS1_27BinaryOpScalarTensorFunctorIhLi1ELi1ELi0EEEJSt4plusIhEPhhEEEvT_T0_DpT1_: ; @_ZN2at6native12_GLOBAL__N_125multi_tensor_apply_kernelINS1_18TensorListMetadataILi1EEENS1_27BinaryOpScalarTensorFunctorIhLi1ELi1ELi0EEEJSt4plusIhEPhhEEEvT_T0_DpT1_
; %bb.0:
	s_mov_b32 s2, ttmp9
	s_mov_b32 s3, 0
	s_delay_alu instid0(SALU_CYCLE_1) | instskip(SKIP_1) | instid1(SALU_CYCLE_1)
	s_mul_u64 s[4:5], s[2:3], 3
	s_add_nc_u64 s[2:3], s[0:1], s[2:3]
	s_add_nc_u64 s[2:3], s[2:3], s[4:5]
	s_clause 0x1
	s_load_b32 s2, s[2:3], 0x820
	s_load_u8 s3, s[0:1], ttmp9 offset:0x6e0
	s_wait_kmcnt 0x0
	s_lshl_b32 s3, s3, 3
	s_clause 0x2
	s_load_b64 s[4:5], s[0:1], s3 offset:0x370
	s_load_b64 s[6:7], s[0:1], s3 offset:0x0
	s_load_b96 s[8:10], s[0:1], 0xd30
	s_ashr_i32 s3, s2, 31
	s_delay_alu instid0(SALU_CYCLE_1) | instskip(SKIP_3) | instid1(SALU_CYCLE_1)
	s_lshl_b64 s[12:13], s[2:3], 16
	s_wait_kmcnt 0x0
	s_sub_nc_u64 s[14:15], s[4:5], s[12:13]
	s_or_b32 s11, s4, s6
	s_and_b32 s11, s11, 3
	s_delay_alu instid0(SALU_CYCLE_1)
	s_cmp_eq_u32 s11, 0
	s_cbranch_scc1 .LBB0_21
; %bb.1:
	v_cmp_lt_i64_e64 s2, s[14:15], 1
	s_and_b32 vcc_lo, exec_lo, s2
	s_cbranch_vccnz .LBB0_20
; %bb.2:
	s_load_b32 s2, s[0:1], 0xd4c
	v_cmp_gt_i64_e64 s4, 0x10000, s[14:15]
	s_mov_b32 s21, 0
	v_cmp_gt_u64_e64 s11, 0x10000, s[14:15]
	s_mov_b32 s5, s21
	v_add_co_u32 v12, s3, s12, v0
	s_and_b32 s4, s4, exec_lo
	s_cselect_b32 s17, s15, 0
	s_cselect_b32 s16, s14, 0x10000
	v_add_co_ci_u32_e64 v13, null, s13, 0, s3
	s_mov_b32 s3, s21
	v_add_co_u32 v2, vcc_lo, s6, v12
	s_delay_alu instid0(VALU_DEP_1)
	v_add_co_ci_u32_e64 v3, null, s7, v13, vcc_lo
	v_mov_b32_e32 v1, 0
	s_wait_kmcnt 0x0
	s_and_b32 s20, s2, 0xffff
	s_and_b32 s2, s11, exec_lo
	s_mul_i32 s4, s20, 3
	s_cselect_b32 s19, s15, 0
	s_add_nc_u64 s[22:23], s[12:13], s[4:5]
	s_cselect_b32 s18, s14, 0x10000
	s_add_nc_u64 s[22:23], s[6:7], s[22:23]
	s_lshl_b32 s2, s20, 1
	v_add_co_u32 v4, s5, s22, v0
	s_delay_alu instid0(VALU_DEP_1)
	v_add_co_ci_u32_e64 v5, null, s23, 0, s5
	s_wait_alu 0xfffe
	s_add_nc_u64 s[22:23], s[12:13], s[2:3]
	v_add_co_u32 v6, s3, s4, v0
	s_wait_alu 0xfffe
	s_add_nc_u64 s[4:5], s[6:7], s[22:23]
	v_add_co_ci_u32_e64 v7, null, 0, 0, s3
	s_wait_alu 0xfffe
	v_add_co_u32 v8, s3, s4, v0
	v_add_co_u32 v10, s2, s2, v0
	s_wait_alu 0xf1ff
	v_add_co_ci_u32_e64 v9, null, s5, 0, s3
	v_add_co_ci_u32_e64 v11, null, 0, 0, s2
	s_add_nc_u64 s[2:3], s[6:7], s[20:21]
	s_mov_b64 s[22:23], 0
	s_wait_alu 0xfffe
	v_add_co_u32 v12, vcc_lo, s2, v12
	v_add_co_u32 v14, s2, v0, s20
	s_wait_alu 0xfffd
	v_add_co_ci_u32_e64 v13, null, s3, v13, vcc_lo
	s_wait_alu 0xf1ff
	v_add_co_ci_u32_e64 v15, null, 0, 0, s2
	s_lshl_b32 s20, s20, 2
	s_branch .LBB0_4
.LBB0_3:                                ;   in Loop: Header=BB0_4 Depth=1
	s_wait_alu 0xfffe
	s_or_b32 exec_lo, exec_lo, s2
	s_add_nc_u64 s[22:23], s[22:23], s[20:21]
	s_wait_alu 0xfffe
	v_cmp_lt_i64_e64 s2, s[22:23], s[16:17]
	s_and_b32 vcc_lo, exec_lo, s2
	s_wait_alu 0xfffe
	s_cbranch_vccz .LBB0_20
.LBB0_4:                                ; =>This Inner Loop Header: Depth=1
	v_add_co_u32 v16, s2, v0, s22
	s_wait_alu 0xf1ff
	v_add_co_ci_u32_e64 v17, null, 0, s23, s2
	s_delay_alu instid0(VALU_DEP_1)
	v_cmp_gt_u64_e32 vcc_lo, s[18:19], v[16:17]
	v_mov_b32_e32 v16, 0
	s_and_saveexec_b32 s3, vcc_lo
	s_cbranch_execz .LBB0_6
; %bb.5:                                ;   in Loop: Header=BB0_4 Depth=1
	v_add_co_u32 v16, s2, v2, s22
	s_wait_alu 0xf1ff
	v_add_co_ci_u32_e64 v17, null, s23, v3, s2
	global_load_u8 v16, v[16:17], off
.LBB0_6:                                ;   in Loop: Header=BB0_4 Depth=1
	s_wait_alu 0xfffe
	s_or_b32 exec_lo, exec_lo, s3
	v_add_co_u32 v17, s2, v14, s22
	s_wait_alu 0xf1ff
	v_add_co_ci_u32_e64 v18, null, s23, v15, s2
	s_delay_alu instid0(VALU_DEP_1)
	v_cmp_gt_u64_e64 s2, s[18:19], v[17:18]
	v_dual_mov_b32 v17, 0 :: v_dual_mov_b32 v18, 0
	s_and_saveexec_b32 s4, s2
	s_cbranch_execz .LBB0_8
; %bb.7:                                ;   in Loop: Header=BB0_4 Depth=1
	v_add_co_u32 v18, s3, v12, s22
	s_wait_alu 0xf1ff
	v_add_co_ci_u32_e64 v19, null, s23, v13, s3
	global_load_u8 v18, v[18:19], off
.LBB0_8:                                ;   in Loop: Header=BB0_4 Depth=1
	s_wait_alu 0xfffe
	s_or_b32 exec_lo, exec_lo, s4
	v_add_co_u32 v19, s3, v10, s22
	s_wait_alu 0xf1ff
	v_add_co_ci_u32_e64 v20, null, s23, v11, s3
	s_delay_alu instid0(VALU_DEP_1)
	v_cmp_gt_u64_e64 s3, s[18:19], v[19:20]
	s_and_saveexec_b32 s5, s3
	s_cbranch_execz .LBB0_10
; %bb.9:                                ;   in Loop: Header=BB0_4 Depth=1
	v_add_co_u32 v19, s4, v8, s22
	s_wait_alu 0xf1ff
	v_add_co_ci_u32_e64 v20, null, s23, v9, s4
	global_load_u8 v17, v[19:20], off
.LBB0_10:                               ;   in Loop: Header=BB0_4 Depth=1
	s_wait_alu 0xfffe
	s_or_b32 exec_lo, exec_lo, s5
	v_add_co_u32 v19, s4, v6, s22
	s_wait_alu 0xf1ff
	v_add_co_ci_u32_e64 v20, null, s23, v7, s4
	s_delay_alu instid0(VALU_DEP_1)
	v_cmp_gt_u64_e64 s4, s[18:19], v[19:20]
	v_mov_b32_e32 v19, 0
	s_and_saveexec_b32 s11, s4
	s_cbranch_execz .LBB0_12
; %bb.11:                               ;   in Loop: Header=BB0_4 Depth=1
	v_add_co_u32 v19, s5, v4, s22
	s_wait_alu 0xf1ff
	v_add_co_ci_u32_e64 v20, null, s23, v5, s5
	global_load_u8 v19, v[19:20], off
.LBB0_12:                               ;   in Loop: Header=BB0_4 Depth=1
	s_wait_alu 0xfffe
	s_or_b32 exec_lo, exec_lo, s11
	global_load_u8 v20, v1, s[8:9]
	s_wait_loadcnt 0x0
	v_mul_lo_u32 v20, v20, s10
	s_delay_alu instid0(VALU_DEP_1) | instskip(SKIP_3) | instid1(VALU_DEP_4)
	v_add_nc_u16 v18, v20, v18
	v_add_nc_u16 v16, v20, v16
	;; [unrolled: 1-line block ×4, first 2 shown]
	v_lshlrev_b16 v18, 8, v18
	s_delay_alu instid0(VALU_DEP_4) | instskip(NEXT) | instid1(VALU_DEP_4)
	v_and_b32_e32 v16, 0xff, v16
	v_lshlrev_b16 v19, 8, v19
	s_delay_alu instid0(VALU_DEP_4) | instskip(NEXT) | instid1(VALU_DEP_3)
	v_and_b32_e32 v17, 0xff, v17
	v_or_b32_e32 v16, v16, v18
	s_delay_alu instid0(VALU_DEP_2) | instskip(NEXT) | instid1(VALU_DEP_2)
	v_or_b32_e32 v17, v17, v19
	v_and_b32_e32 v16, 0xffff, v16
	s_delay_alu instid0(VALU_DEP_2) | instskip(NEXT) | instid1(VALU_DEP_1)
	v_lshlrev_b32_e32 v17, 16, v17
	v_or_b32_e32 v16, v16, v17
	s_and_saveexec_b32 s5, vcc_lo
	s_cbranch_execnz .LBB0_16
; %bb.13:                               ;   in Loop: Header=BB0_4 Depth=1
	s_wait_alu 0xfffe
	s_or_b32 exec_lo, exec_lo, s5
	s_and_saveexec_b32 s5, s2
	s_cbranch_execnz .LBB0_17
.LBB0_14:                               ;   in Loop: Header=BB0_4 Depth=1
	s_wait_alu 0xfffe
	s_or_b32 exec_lo, exec_lo, s5
	s_and_saveexec_b32 s2, s3
	s_cbranch_execnz .LBB0_18
.LBB0_15:                               ;   in Loop: Header=BB0_4 Depth=1
	s_wait_alu 0xfffe
	s_or_b32 exec_lo, exec_lo, s2
	s_and_saveexec_b32 s2, s4
	s_cbranch_execz .LBB0_3
	s_branch .LBB0_19
.LBB0_16:                               ;   in Loop: Header=BB0_4 Depth=1
	v_add_co_u32 v17, vcc_lo, v2, s22
	s_wait_alu 0xfffd
	v_add_co_ci_u32_e64 v18, null, s23, v3, vcc_lo
	global_store_b8 v[17:18], v16, off
	s_wait_alu 0xfffe
	s_or_b32 exec_lo, exec_lo, s5
	s_and_saveexec_b32 s5, s2
	s_cbranch_execz .LBB0_14
.LBB0_17:                               ;   in Loop: Header=BB0_4 Depth=1
	v_add_co_u32 v17, vcc_lo, v12, s22
	s_wait_alu 0xfffd
	v_add_co_ci_u32_e64 v18, null, s23, v13, vcc_lo
	v_lshrrev_b32_e32 v19, 8, v16
	global_store_b8 v[17:18], v19, off
	s_wait_alu 0xfffe
	s_or_b32 exec_lo, exec_lo, s5
	s_and_saveexec_b32 s2, s3
	s_cbranch_execz .LBB0_15
.LBB0_18:                               ;   in Loop: Header=BB0_4 Depth=1
	v_add_co_u32 v17, vcc_lo, v8, s22
	s_wait_alu 0xfffd
	v_add_co_ci_u32_e64 v18, null, s23, v9, vcc_lo
	global_store_d16_hi_b8 v[17:18], v16, off
	s_wait_alu 0xfffe
	s_or_b32 exec_lo, exec_lo, s2
	s_and_saveexec_b32 s2, s4
	s_cbranch_execz .LBB0_3
.LBB0_19:                               ;   in Loop: Header=BB0_4 Depth=1
	v_add_co_u32 v17, vcc_lo, v4, s22
	s_wait_alu 0xfffd
	v_add_co_ci_u32_e64 v18, null, s23, v5, vcc_lo
	v_lshrrev_b32_e32 v16, 24, v16
	global_store_b8 v[17:18], v16, off
	s_branch .LBB0_3
.LBB0_20:
	s_cbranch_execz .LBB0_22
	s_branch .LBB0_25
.LBB0_21:
.LBB0_22:
	v_cmp_gt_i64_e64 s2, 0x10000, s[14:15]
	v_dual_mov_b32 v3, 0 :: v_dual_lshlrev_b32 v2, 2, v0
	s_mov_b32 s4, 0
	s_mov_b32 s5, exec_lo
	s_and_b32 s2, s2, exec_lo
	s_cselect_b32 s3, s15, 0
	s_cselect_b32 s2, s14, 0x10000
	s_wait_alu 0xfffe
	v_cmpx_gt_i64_e64 s[2:3], v[2:3]
	s_cbranch_execz .LBB0_25
; %bb.23:
	s_load_b32 s5, s[0:1], 0xd4c
	s_add_nc_u64 s[0:1], s[6:7], s[12:13]
	v_mov_b32_e32 v1, v3
	v_add_co_u32 v4, s0, s0, v2
	s_wait_alu 0xf1ff
	v_add_co_ci_u32_e64 v5, null, s1, 0, s0
	s_wait_kmcnt 0x0
	s_and_b32 s1, s5, 0xffff
	s_wait_alu 0xfffe
	s_lshl_b32 s5, s1, 2
.LBB0_24:                               ; =>This Inner Loop Header: Depth=1
	global_load_u8 v2, v3, s[8:9]
	global_load_b32 v8, v[4:5], off
	v_add_co_u32 v0, vcc_lo, v0, s1
	s_wait_alu 0xfffd
	v_add_co_ci_u32_e64 v1, null, 0, v1, vcc_lo
	s_delay_alu instid0(VALU_DEP_1) | instskip(NEXT) | instid1(VALU_DEP_1)
	v_lshlrev_b64_e32 v[6:7], 2, v[0:1]
	v_cmp_le_i64_e32 vcc_lo, s[2:3], v[6:7]
	s_or_b32 s4, vcc_lo, s4
	s_wait_loadcnt 0x1
	v_mul_lo_u32 v2, v2, s10
	s_wait_loadcnt 0x0
	v_lshrrev_b32_e32 v6, 24, v8
	v_lshrrev_b32_e32 v7, 16, v8
	v_lshrrev_b16 v9, 8, v8
	s_delay_alu instid0(VALU_DEP_3) | instskip(NEXT) | instid1(VALU_DEP_3)
	v_add_nc_u16 v6, v2, v6
	v_add_nc_u16 v7, v2, v7
	s_delay_alu instid0(VALU_DEP_3) | instskip(SKIP_1) | instid1(VALU_DEP_4)
	v_add_nc_u16 v9, v2, v9
	v_add_nc_u16 v2, v2, v8
	v_lshlrev_b16 v6, 8, v6
	s_delay_alu instid0(VALU_DEP_4) | instskip(NEXT) | instid1(VALU_DEP_4)
	v_and_b32_e32 v7, 0xff, v7
	v_lshlrev_b16 v8, 8, v9
	s_delay_alu instid0(VALU_DEP_4) | instskip(NEXT) | instid1(VALU_DEP_3)
	v_and_b32_e32 v2, 0xff, v2
	v_or_b32_e32 v6, v7, v6
	s_delay_alu instid0(VALU_DEP_2) | instskip(NEXT) | instid1(VALU_DEP_2)
	v_or_b32_e32 v2, v2, v8
	v_lshlrev_b32_e32 v6, 16, v6
	s_delay_alu instid0(VALU_DEP_2) | instskip(NEXT) | instid1(VALU_DEP_1)
	v_and_b32_e32 v2, 0xffff, v2
	v_or_b32_e32 v2, v2, v6
	global_store_b32 v[4:5], v2, off
	s_wait_alu 0xfffe
	v_add_co_u32 v4, s0, v4, s5
	s_wait_alu 0xf1ff
	v_add_co_ci_u32_e64 v5, null, 0, v5, s0
	s_and_not1_b32 exec_lo, exec_lo, s4
	s_cbranch_execnz .LBB0_24
.LBB0_25:
	s_endpgm
	.section	.rodata,"a",@progbits
	.p2align	6, 0x0
	.amdhsa_kernel _ZN2at6native12_GLOBAL__N_125multi_tensor_apply_kernelINS1_18TensorListMetadataILi1EEENS1_27BinaryOpScalarTensorFunctorIhLi1ELi1ELi0EEEJSt4plusIhEPhhEEEvT_T0_DpT1_
		.amdhsa_group_segment_fixed_size 0
		.amdhsa_private_segment_fixed_size 0
		.amdhsa_kernarg_size 3648
		.amdhsa_user_sgpr_count 2
		.amdhsa_user_sgpr_dispatch_ptr 0
		.amdhsa_user_sgpr_queue_ptr 0
		.amdhsa_user_sgpr_kernarg_segment_ptr 1
		.amdhsa_user_sgpr_dispatch_id 0
		.amdhsa_user_sgpr_private_segment_size 0
		.amdhsa_wavefront_size32 1
		.amdhsa_uses_dynamic_stack 0
		.amdhsa_enable_private_segment 0
		.amdhsa_system_sgpr_workgroup_id_x 1
		.amdhsa_system_sgpr_workgroup_id_y 0
		.amdhsa_system_sgpr_workgroup_id_z 0
		.amdhsa_system_sgpr_workgroup_info 0
		.amdhsa_system_vgpr_workitem_id 0
		.amdhsa_next_free_vgpr 21
		.amdhsa_next_free_sgpr 24
		.amdhsa_reserve_vcc 1
		.amdhsa_float_round_mode_32 0
		.amdhsa_float_round_mode_16_64 0
		.amdhsa_float_denorm_mode_32 3
		.amdhsa_float_denorm_mode_16_64 3
		.amdhsa_fp16_overflow 0
		.amdhsa_workgroup_processor_mode 1
		.amdhsa_memory_ordered 1
		.amdhsa_forward_progress 1
		.amdhsa_inst_pref_size 13
		.amdhsa_round_robin_scheduling 0
		.amdhsa_exception_fp_ieee_invalid_op 0
		.amdhsa_exception_fp_denorm_src 0
		.amdhsa_exception_fp_ieee_div_zero 0
		.amdhsa_exception_fp_ieee_overflow 0
		.amdhsa_exception_fp_ieee_underflow 0
		.amdhsa_exception_fp_ieee_inexact 0
		.amdhsa_exception_int_div_zero 0
	.end_amdhsa_kernel
	.section	.text._ZN2at6native12_GLOBAL__N_125multi_tensor_apply_kernelINS1_18TensorListMetadataILi1EEENS1_27BinaryOpScalarTensorFunctorIhLi1ELi1ELi0EEEJSt4plusIhEPhhEEEvT_T0_DpT1_,"axG",@progbits,_ZN2at6native12_GLOBAL__N_125multi_tensor_apply_kernelINS1_18TensorListMetadataILi1EEENS1_27BinaryOpScalarTensorFunctorIhLi1ELi1ELi0EEEJSt4plusIhEPhhEEEvT_T0_DpT1_,comdat
.Lfunc_end0:
	.size	_ZN2at6native12_GLOBAL__N_125multi_tensor_apply_kernelINS1_18TensorListMetadataILi1EEENS1_27BinaryOpScalarTensorFunctorIhLi1ELi1ELi0EEEJSt4plusIhEPhhEEEvT_T0_DpT1_, .Lfunc_end0-_ZN2at6native12_GLOBAL__N_125multi_tensor_apply_kernelINS1_18TensorListMetadataILi1EEENS1_27BinaryOpScalarTensorFunctorIhLi1ELi1ELi0EEEJSt4plusIhEPhhEEEvT_T0_DpT1_
                                        ; -- End function
	.set _ZN2at6native12_GLOBAL__N_125multi_tensor_apply_kernelINS1_18TensorListMetadataILi1EEENS1_27BinaryOpScalarTensorFunctorIhLi1ELi1ELi0EEEJSt4plusIhEPhhEEEvT_T0_DpT1_.num_vgpr, 21
	.set _ZN2at6native12_GLOBAL__N_125multi_tensor_apply_kernelINS1_18TensorListMetadataILi1EEENS1_27BinaryOpScalarTensorFunctorIhLi1ELi1ELi0EEEJSt4plusIhEPhhEEEvT_T0_DpT1_.num_agpr, 0
	.set _ZN2at6native12_GLOBAL__N_125multi_tensor_apply_kernelINS1_18TensorListMetadataILi1EEENS1_27BinaryOpScalarTensorFunctorIhLi1ELi1ELi0EEEJSt4plusIhEPhhEEEvT_T0_DpT1_.numbered_sgpr, 24
	.set _ZN2at6native12_GLOBAL__N_125multi_tensor_apply_kernelINS1_18TensorListMetadataILi1EEENS1_27BinaryOpScalarTensorFunctorIhLi1ELi1ELi0EEEJSt4plusIhEPhhEEEvT_T0_DpT1_.num_named_barrier, 0
	.set _ZN2at6native12_GLOBAL__N_125multi_tensor_apply_kernelINS1_18TensorListMetadataILi1EEENS1_27BinaryOpScalarTensorFunctorIhLi1ELi1ELi0EEEJSt4plusIhEPhhEEEvT_T0_DpT1_.private_seg_size, 0
	.set _ZN2at6native12_GLOBAL__N_125multi_tensor_apply_kernelINS1_18TensorListMetadataILi1EEENS1_27BinaryOpScalarTensorFunctorIhLi1ELi1ELi0EEEJSt4plusIhEPhhEEEvT_T0_DpT1_.uses_vcc, 1
	.set _ZN2at6native12_GLOBAL__N_125multi_tensor_apply_kernelINS1_18TensorListMetadataILi1EEENS1_27BinaryOpScalarTensorFunctorIhLi1ELi1ELi0EEEJSt4plusIhEPhhEEEvT_T0_DpT1_.uses_flat_scratch, 0
	.set _ZN2at6native12_GLOBAL__N_125multi_tensor_apply_kernelINS1_18TensorListMetadataILi1EEENS1_27BinaryOpScalarTensorFunctorIhLi1ELi1ELi0EEEJSt4plusIhEPhhEEEvT_T0_DpT1_.has_dyn_sized_stack, 0
	.set _ZN2at6native12_GLOBAL__N_125multi_tensor_apply_kernelINS1_18TensorListMetadataILi1EEENS1_27BinaryOpScalarTensorFunctorIhLi1ELi1ELi0EEEJSt4plusIhEPhhEEEvT_T0_DpT1_.has_recursion, 0
	.set _ZN2at6native12_GLOBAL__N_125multi_tensor_apply_kernelINS1_18TensorListMetadataILi1EEENS1_27BinaryOpScalarTensorFunctorIhLi1ELi1ELi0EEEJSt4plusIhEPhhEEEvT_T0_DpT1_.has_indirect_call, 0
	.section	.AMDGPU.csdata,"",@progbits
; Kernel info:
; codeLenInByte = 1556
; TotalNumSgprs: 26
; NumVgprs: 21
; ScratchSize: 0
; MemoryBound: 0
; FloatMode: 240
; IeeeMode: 1
; LDSByteSize: 0 bytes/workgroup (compile time only)
; SGPRBlocks: 0
; VGPRBlocks: 2
; NumSGPRsForWavesPerEU: 26
; NumVGPRsForWavesPerEU: 21
; Occupancy: 16
; WaveLimiterHint : 0
; COMPUTE_PGM_RSRC2:SCRATCH_EN: 0
; COMPUTE_PGM_RSRC2:USER_SGPR: 2
; COMPUTE_PGM_RSRC2:TRAP_HANDLER: 0
; COMPUTE_PGM_RSRC2:TGID_X_EN: 1
; COMPUTE_PGM_RSRC2:TGID_Y_EN: 0
; COMPUTE_PGM_RSRC2:TGID_Z_EN: 0
; COMPUTE_PGM_RSRC2:TIDIG_COMP_CNT: 0
	.section	.text._ZN2at6native12_GLOBAL__N_125multi_tensor_apply_kernelINS1_18TensorListMetadataILi1EEENS1_27BinaryOpScalarTensorFunctorIaLi1ELi1ELi0EEEJSt4plusIaEPaaEEEvT_T0_DpT1_,"axG",@progbits,_ZN2at6native12_GLOBAL__N_125multi_tensor_apply_kernelINS1_18TensorListMetadataILi1EEENS1_27BinaryOpScalarTensorFunctorIaLi1ELi1ELi0EEEJSt4plusIaEPaaEEEvT_T0_DpT1_,comdat
	.globl	_ZN2at6native12_GLOBAL__N_125multi_tensor_apply_kernelINS1_18TensorListMetadataILi1EEENS1_27BinaryOpScalarTensorFunctorIaLi1ELi1ELi0EEEJSt4plusIaEPaaEEEvT_T0_DpT1_ ; -- Begin function _ZN2at6native12_GLOBAL__N_125multi_tensor_apply_kernelINS1_18TensorListMetadataILi1EEENS1_27BinaryOpScalarTensorFunctorIaLi1ELi1ELi0EEEJSt4plusIaEPaaEEEvT_T0_DpT1_
	.p2align	8
	.type	_ZN2at6native12_GLOBAL__N_125multi_tensor_apply_kernelINS1_18TensorListMetadataILi1EEENS1_27BinaryOpScalarTensorFunctorIaLi1ELi1ELi0EEEJSt4plusIaEPaaEEEvT_T0_DpT1_,@function
_ZN2at6native12_GLOBAL__N_125multi_tensor_apply_kernelINS1_18TensorListMetadataILi1EEENS1_27BinaryOpScalarTensorFunctorIaLi1ELi1ELi0EEEJSt4plusIaEPaaEEEvT_T0_DpT1_: ; @_ZN2at6native12_GLOBAL__N_125multi_tensor_apply_kernelINS1_18TensorListMetadataILi1EEENS1_27BinaryOpScalarTensorFunctorIaLi1ELi1ELi0EEEJSt4plusIaEPaaEEEvT_T0_DpT1_
; %bb.0:
	s_mov_b32 s2, ttmp9
	s_mov_b32 s3, 0
	s_delay_alu instid0(SALU_CYCLE_1) | instskip(SKIP_1) | instid1(SALU_CYCLE_1)
	s_mul_u64 s[4:5], s[2:3], 3
	s_add_nc_u64 s[2:3], s[0:1], s[2:3]
	s_add_nc_u64 s[2:3], s[2:3], s[4:5]
	s_clause 0x1
	s_load_b32 s2, s[2:3], 0x820
	s_load_u8 s3, s[0:1], ttmp9 offset:0x6e0
	s_wait_kmcnt 0x0
	s_lshl_b32 s3, s3, 3
	s_clause 0x2
	s_load_b64 s[4:5], s[0:1], s3 offset:0x370
	s_load_b64 s[6:7], s[0:1], s3 offset:0x0
	s_load_b96 s[8:10], s[0:1], 0xd30
	s_ashr_i32 s3, s2, 31
	s_delay_alu instid0(SALU_CYCLE_1) | instskip(SKIP_3) | instid1(SALU_CYCLE_1)
	s_lshl_b64 s[12:13], s[2:3], 16
	s_wait_kmcnt 0x0
	s_sub_nc_u64 s[14:15], s[4:5], s[12:13]
	s_or_b32 s11, s4, s6
	s_and_b32 s11, s11, 3
	s_delay_alu instid0(SALU_CYCLE_1)
	s_cmp_eq_u32 s11, 0
	s_cbranch_scc1 .LBB1_21
; %bb.1:
	v_cmp_lt_i64_e64 s2, s[14:15], 1
	s_and_b32 vcc_lo, exec_lo, s2
	s_cbranch_vccnz .LBB1_20
; %bb.2:
	s_load_b32 s2, s[0:1], 0xd4c
	v_cmp_gt_i64_e64 s4, 0x10000, s[14:15]
	s_mov_b32 s21, 0
	v_cmp_gt_u64_e64 s11, 0x10000, s[14:15]
	s_mov_b32 s5, s21
	v_add_co_u32 v12, s3, s12, v0
	s_and_b32 s4, s4, exec_lo
	s_cselect_b32 s17, s15, 0
	s_cselect_b32 s16, s14, 0x10000
	v_add_co_ci_u32_e64 v13, null, s13, 0, s3
	s_mov_b32 s3, s21
	v_add_co_u32 v2, vcc_lo, s6, v12
	s_delay_alu instid0(VALU_DEP_1)
	v_add_co_ci_u32_e64 v3, null, s7, v13, vcc_lo
	v_mov_b32_e32 v1, 0
	s_wait_kmcnt 0x0
	s_and_b32 s20, s2, 0xffff
	s_and_b32 s2, s11, exec_lo
	s_mul_i32 s4, s20, 3
	s_cselect_b32 s19, s15, 0
	s_add_nc_u64 s[22:23], s[12:13], s[4:5]
	s_cselect_b32 s18, s14, 0x10000
	s_add_nc_u64 s[22:23], s[6:7], s[22:23]
	s_lshl_b32 s2, s20, 1
	v_add_co_u32 v4, s5, s22, v0
	s_delay_alu instid0(VALU_DEP_1)
	v_add_co_ci_u32_e64 v5, null, s23, 0, s5
	s_wait_alu 0xfffe
	s_add_nc_u64 s[22:23], s[12:13], s[2:3]
	v_add_co_u32 v6, s3, s4, v0
	s_wait_alu 0xfffe
	s_add_nc_u64 s[4:5], s[6:7], s[22:23]
	v_add_co_ci_u32_e64 v7, null, 0, 0, s3
	s_wait_alu 0xfffe
	v_add_co_u32 v8, s3, s4, v0
	v_add_co_u32 v10, s2, s2, v0
	s_wait_alu 0xf1ff
	v_add_co_ci_u32_e64 v9, null, s5, 0, s3
	v_add_co_ci_u32_e64 v11, null, 0, 0, s2
	s_add_nc_u64 s[2:3], s[6:7], s[20:21]
	s_mov_b64 s[22:23], 0
	s_wait_alu 0xfffe
	v_add_co_u32 v12, vcc_lo, s2, v12
	v_add_co_u32 v14, s2, v0, s20
	s_wait_alu 0xfffd
	v_add_co_ci_u32_e64 v13, null, s3, v13, vcc_lo
	s_wait_alu 0xf1ff
	v_add_co_ci_u32_e64 v15, null, 0, 0, s2
	s_lshl_b32 s20, s20, 2
	s_branch .LBB1_4
.LBB1_3:                                ;   in Loop: Header=BB1_4 Depth=1
	s_wait_alu 0xfffe
	s_or_b32 exec_lo, exec_lo, s2
	s_add_nc_u64 s[22:23], s[22:23], s[20:21]
	s_wait_alu 0xfffe
	v_cmp_lt_i64_e64 s2, s[22:23], s[16:17]
	s_and_b32 vcc_lo, exec_lo, s2
	s_wait_alu 0xfffe
	s_cbranch_vccz .LBB1_20
.LBB1_4:                                ; =>This Inner Loop Header: Depth=1
	v_add_co_u32 v16, s2, v0, s22
	s_wait_alu 0xf1ff
	v_add_co_ci_u32_e64 v17, null, 0, s23, s2
	s_delay_alu instid0(VALU_DEP_1)
	v_cmp_gt_u64_e32 vcc_lo, s[18:19], v[16:17]
	v_mov_b32_e32 v16, 0
	s_and_saveexec_b32 s3, vcc_lo
	s_cbranch_execz .LBB1_6
; %bb.5:                                ;   in Loop: Header=BB1_4 Depth=1
	v_add_co_u32 v16, s2, v2, s22
	s_wait_alu 0xf1ff
	v_add_co_ci_u32_e64 v17, null, s23, v3, s2
	global_load_u8 v16, v[16:17], off
.LBB1_6:                                ;   in Loop: Header=BB1_4 Depth=1
	s_wait_alu 0xfffe
	s_or_b32 exec_lo, exec_lo, s3
	v_add_co_u32 v17, s2, v14, s22
	s_wait_alu 0xf1ff
	v_add_co_ci_u32_e64 v18, null, s23, v15, s2
	s_delay_alu instid0(VALU_DEP_1)
	v_cmp_gt_u64_e64 s2, s[18:19], v[17:18]
	v_dual_mov_b32 v17, 0 :: v_dual_mov_b32 v18, 0
	s_and_saveexec_b32 s4, s2
	s_cbranch_execz .LBB1_8
; %bb.7:                                ;   in Loop: Header=BB1_4 Depth=1
	v_add_co_u32 v18, s3, v12, s22
	s_wait_alu 0xf1ff
	v_add_co_ci_u32_e64 v19, null, s23, v13, s3
	global_load_u8 v18, v[18:19], off
.LBB1_8:                                ;   in Loop: Header=BB1_4 Depth=1
	s_wait_alu 0xfffe
	s_or_b32 exec_lo, exec_lo, s4
	v_add_co_u32 v19, s3, v10, s22
	s_wait_alu 0xf1ff
	v_add_co_ci_u32_e64 v20, null, s23, v11, s3
	s_delay_alu instid0(VALU_DEP_1)
	v_cmp_gt_u64_e64 s3, s[18:19], v[19:20]
	s_and_saveexec_b32 s5, s3
	s_cbranch_execz .LBB1_10
; %bb.9:                                ;   in Loop: Header=BB1_4 Depth=1
	v_add_co_u32 v19, s4, v8, s22
	s_wait_alu 0xf1ff
	v_add_co_ci_u32_e64 v20, null, s23, v9, s4
	global_load_u8 v17, v[19:20], off
.LBB1_10:                               ;   in Loop: Header=BB1_4 Depth=1
	s_wait_alu 0xfffe
	s_or_b32 exec_lo, exec_lo, s5
	v_add_co_u32 v19, s4, v6, s22
	s_wait_alu 0xf1ff
	v_add_co_ci_u32_e64 v20, null, s23, v7, s4
	s_delay_alu instid0(VALU_DEP_1)
	v_cmp_gt_u64_e64 s4, s[18:19], v[19:20]
	v_mov_b32_e32 v19, 0
	s_and_saveexec_b32 s11, s4
	s_cbranch_execz .LBB1_12
; %bb.11:                               ;   in Loop: Header=BB1_4 Depth=1
	v_add_co_u32 v19, s5, v4, s22
	s_wait_alu 0xf1ff
	v_add_co_ci_u32_e64 v20, null, s23, v5, s5
	global_load_u8 v19, v[19:20], off
.LBB1_12:                               ;   in Loop: Header=BB1_4 Depth=1
	s_wait_alu 0xfffe
	s_or_b32 exec_lo, exec_lo, s11
	global_load_u8 v20, v1, s[8:9]
	s_wait_loadcnt 0x0
	v_mul_lo_u32 v20, v20, s10
	s_delay_alu instid0(VALU_DEP_1) | instskip(SKIP_3) | instid1(VALU_DEP_4)
	v_add_nc_u16 v18, v20, v18
	v_add_nc_u16 v16, v20, v16
	;; [unrolled: 1-line block ×4, first 2 shown]
	v_lshlrev_b16 v18, 8, v18
	s_delay_alu instid0(VALU_DEP_4) | instskip(NEXT) | instid1(VALU_DEP_4)
	v_and_b32_e32 v16, 0xff, v16
	v_lshlrev_b16 v19, 8, v19
	s_delay_alu instid0(VALU_DEP_4) | instskip(NEXT) | instid1(VALU_DEP_3)
	v_and_b32_e32 v17, 0xff, v17
	v_or_b32_e32 v16, v16, v18
	s_delay_alu instid0(VALU_DEP_2) | instskip(NEXT) | instid1(VALU_DEP_2)
	v_or_b32_e32 v17, v17, v19
	v_and_b32_e32 v16, 0xffff, v16
	s_delay_alu instid0(VALU_DEP_2) | instskip(NEXT) | instid1(VALU_DEP_1)
	v_lshlrev_b32_e32 v17, 16, v17
	v_or_b32_e32 v16, v16, v17
	s_and_saveexec_b32 s5, vcc_lo
	s_cbranch_execnz .LBB1_16
; %bb.13:                               ;   in Loop: Header=BB1_4 Depth=1
	s_wait_alu 0xfffe
	s_or_b32 exec_lo, exec_lo, s5
	s_and_saveexec_b32 s5, s2
	s_cbranch_execnz .LBB1_17
.LBB1_14:                               ;   in Loop: Header=BB1_4 Depth=1
	s_wait_alu 0xfffe
	s_or_b32 exec_lo, exec_lo, s5
	s_and_saveexec_b32 s2, s3
	s_cbranch_execnz .LBB1_18
.LBB1_15:                               ;   in Loop: Header=BB1_4 Depth=1
	s_wait_alu 0xfffe
	s_or_b32 exec_lo, exec_lo, s2
	s_and_saveexec_b32 s2, s4
	s_cbranch_execz .LBB1_3
	s_branch .LBB1_19
.LBB1_16:                               ;   in Loop: Header=BB1_4 Depth=1
	v_add_co_u32 v17, vcc_lo, v2, s22
	s_wait_alu 0xfffd
	v_add_co_ci_u32_e64 v18, null, s23, v3, vcc_lo
	global_store_b8 v[17:18], v16, off
	s_wait_alu 0xfffe
	s_or_b32 exec_lo, exec_lo, s5
	s_and_saveexec_b32 s5, s2
	s_cbranch_execz .LBB1_14
.LBB1_17:                               ;   in Loop: Header=BB1_4 Depth=1
	v_add_co_u32 v17, vcc_lo, v12, s22
	s_wait_alu 0xfffd
	v_add_co_ci_u32_e64 v18, null, s23, v13, vcc_lo
	v_lshrrev_b32_e32 v19, 8, v16
	global_store_b8 v[17:18], v19, off
	s_wait_alu 0xfffe
	s_or_b32 exec_lo, exec_lo, s5
	s_and_saveexec_b32 s2, s3
	s_cbranch_execz .LBB1_15
.LBB1_18:                               ;   in Loop: Header=BB1_4 Depth=1
	v_add_co_u32 v17, vcc_lo, v8, s22
	s_wait_alu 0xfffd
	v_add_co_ci_u32_e64 v18, null, s23, v9, vcc_lo
	global_store_d16_hi_b8 v[17:18], v16, off
	s_wait_alu 0xfffe
	s_or_b32 exec_lo, exec_lo, s2
	s_and_saveexec_b32 s2, s4
	s_cbranch_execz .LBB1_3
.LBB1_19:                               ;   in Loop: Header=BB1_4 Depth=1
	v_add_co_u32 v17, vcc_lo, v4, s22
	s_wait_alu 0xfffd
	v_add_co_ci_u32_e64 v18, null, s23, v5, vcc_lo
	v_lshrrev_b32_e32 v16, 24, v16
	global_store_b8 v[17:18], v16, off
	s_branch .LBB1_3
.LBB1_20:
	s_cbranch_execz .LBB1_22
	s_branch .LBB1_25
.LBB1_21:
.LBB1_22:
	v_cmp_gt_i64_e64 s2, 0x10000, s[14:15]
	v_dual_mov_b32 v3, 0 :: v_dual_lshlrev_b32 v2, 2, v0
	s_mov_b32 s4, 0
	s_mov_b32 s5, exec_lo
	s_and_b32 s2, s2, exec_lo
	s_cselect_b32 s3, s15, 0
	s_cselect_b32 s2, s14, 0x10000
	s_wait_alu 0xfffe
	v_cmpx_gt_i64_e64 s[2:3], v[2:3]
	s_cbranch_execz .LBB1_25
; %bb.23:
	s_load_b32 s5, s[0:1], 0xd4c
	s_add_nc_u64 s[0:1], s[6:7], s[12:13]
	v_mov_b32_e32 v1, v3
	v_add_co_u32 v4, s0, s0, v2
	s_wait_alu 0xf1ff
	v_add_co_ci_u32_e64 v5, null, s1, 0, s0
	s_wait_kmcnt 0x0
	s_and_b32 s1, s5, 0xffff
	s_wait_alu 0xfffe
	s_lshl_b32 s5, s1, 2
.LBB1_24:                               ; =>This Inner Loop Header: Depth=1
	global_load_u8 v2, v3, s[8:9]
	global_load_b32 v8, v[4:5], off
	v_add_co_u32 v0, vcc_lo, v0, s1
	s_wait_alu 0xfffd
	v_add_co_ci_u32_e64 v1, null, 0, v1, vcc_lo
	s_delay_alu instid0(VALU_DEP_1) | instskip(NEXT) | instid1(VALU_DEP_1)
	v_lshlrev_b64_e32 v[6:7], 2, v[0:1]
	v_cmp_le_i64_e32 vcc_lo, s[2:3], v[6:7]
	s_or_b32 s4, vcc_lo, s4
	s_wait_loadcnt 0x1
	v_mul_lo_u32 v2, v2, s10
	s_wait_loadcnt 0x0
	v_lshrrev_b32_e32 v6, 24, v8
	v_lshrrev_b32_e32 v7, 16, v8
	v_lshrrev_b16 v9, 8, v8
	s_delay_alu instid0(VALU_DEP_3) | instskip(NEXT) | instid1(VALU_DEP_3)
	v_add_nc_u16 v6, v2, v6
	v_add_nc_u16 v7, v2, v7
	s_delay_alu instid0(VALU_DEP_3) | instskip(SKIP_1) | instid1(VALU_DEP_4)
	v_add_nc_u16 v9, v2, v9
	v_add_nc_u16 v2, v2, v8
	v_lshlrev_b16 v6, 8, v6
	s_delay_alu instid0(VALU_DEP_4) | instskip(NEXT) | instid1(VALU_DEP_4)
	v_and_b32_e32 v7, 0xff, v7
	v_lshlrev_b16 v8, 8, v9
	s_delay_alu instid0(VALU_DEP_4) | instskip(NEXT) | instid1(VALU_DEP_3)
	v_and_b32_e32 v2, 0xff, v2
	v_or_b32_e32 v6, v7, v6
	s_delay_alu instid0(VALU_DEP_2) | instskip(NEXT) | instid1(VALU_DEP_2)
	v_or_b32_e32 v2, v2, v8
	v_lshlrev_b32_e32 v6, 16, v6
	s_delay_alu instid0(VALU_DEP_2) | instskip(NEXT) | instid1(VALU_DEP_1)
	v_and_b32_e32 v2, 0xffff, v2
	v_or_b32_e32 v2, v2, v6
	global_store_b32 v[4:5], v2, off
	s_wait_alu 0xfffe
	v_add_co_u32 v4, s0, v4, s5
	s_wait_alu 0xf1ff
	v_add_co_ci_u32_e64 v5, null, 0, v5, s0
	s_and_not1_b32 exec_lo, exec_lo, s4
	s_cbranch_execnz .LBB1_24
.LBB1_25:
	s_endpgm
	.section	.rodata,"a",@progbits
	.p2align	6, 0x0
	.amdhsa_kernel _ZN2at6native12_GLOBAL__N_125multi_tensor_apply_kernelINS1_18TensorListMetadataILi1EEENS1_27BinaryOpScalarTensorFunctorIaLi1ELi1ELi0EEEJSt4plusIaEPaaEEEvT_T0_DpT1_
		.amdhsa_group_segment_fixed_size 0
		.amdhsa_private_segment_fixed_size 0
		.amdhsa_kernarg_size 3648
		.amdhsa_user_sgpr_count 2
		.amdhsa_user_sgpr_dispatch_ptr 0
		.amdhsa_user_sgpr_queue_ptr 0
		.amdhsa_user_sgpr_kernarg_segment_ptr 1
		.amdhsa_user_sgpr_dispatch_id 0
		.amdhsa_user_sgpr_private_segment_size 0
		.amdhsa_wavefront_size32 1
		.amdhsa_uses_dynamic_stack 0
		.amdhsa_enable_private_segment 0
		.amdhsa_system_sgpr_workgroup_id_x 1
		.amdhsa_system_sgpr_workgroup_id_y 0
		.amdhsa_system_sgpr_workgroup_id_z 0
		.amdhsa_system_sgpr_workgroup_info 0
		.amdhsa_system_vgpr_workitem_id 0
		.amdhsa_next_free_vgpr 21
		.amdhsa_next_free_sgpr 24
		.amdhsa_reserve_vcc 1
		.amdhsa_float_round_mode_32 0
		.amdhsa_float_round_mode_16_64 0
		.amdhsa_float_denorm_mode_32 3
		.amdhsa_float_denorm_mode_16_64 3
		.amdhsa_fp16_overflow 0
		.amdhsa_workgroup_processor_mode 1
		.amdhsa_memory_ordered 1
		.amdhsa_forward_progress 1
		.amdhsa_inst_pref_size 13
		.amdhsa_round_robin_scheduling 0
		.amdhsa_exception_fp_ieee_invalid_op 0
		.amdhsa_exception_fp_denorm_src 0
		.amdhsa_exception_fp_ieee_div_zero 0
		.amdhsa_exception_fp_ieee_overflow 0
		.amdhsa_exception_fp_ieee_underflow 0
		.amdhsa_exception_fp_ieee_inexact 0
		.amdhsa_exception_int_div_zero 0
	.end_amdhsa_kernel
	.section	.text._ZN2at6native12_GLOBAL__N_125multi_tensor_apply_kernelINS1_18TensorListMetadataILi1EEENS1_27BinaryOpScalarTensorFunctorIaLi1ELi1ELi0EEEJSt4plusIaEPaaEEEvT_T0_DpT1_,"axG",@progbits,_ZN2at6native12_GLOBAL__N_125multi_tensor_apply_kernelINS1_18TensorListMetadataILi1EEENS1_27BinaryOpScalarTensorFunctorIaLi1ELi1ELi0EEEJSt4plusIaEPaaEEEvT_T0_DpT1_,comdat
.Lfunc_end1:
	.size	_ZN2at6native12_GLOBAL__N_125multi_tensor_apply_kernelINS1_18TensorListMetadataILi1EEENS1_27BinaryOpScalarTensorFunctorIaLi1ELi1ELi0EEEJSt4plusIaEPaaEEEvT_T0_DpT1_, .Lfunc_end1-_ZN2at6native12_GLOBAL__N_125multi_tensor_apply_kernelINS1_18TensorListMetadataILi1EEENS1_27BinaryOpScalarTensorFunctorIaLi1ELi1ELi0EEEJSt4plusIaEPaaEEEvT_T0_DpT1_
                                        ; -- End function
	.set _ZN2at6native12_GLOBAL__N_125multi_tensor_apply_kernelINS1_18TensorListMetadataILi1EEENS1_27BinaryOpScalarTensorFunctorIaLi1ELi1ELi0EEEJSt4plusIaEPaaEEEvT_T0_DpT1_.num_vgpr, 21
	.set _ZN2at6native12_GLOBAL__N_125multi_tensor_apply_kernelINS1_18TensorListMetadataILi1EEENS1_27BinaryOpScalarTensorFunctorIaLi1ELi1ELi0EEEJSt4plusIaEPaaEEEvT_T0_DpT1_.num_agpr, 0
	.set _ZN2at6native12_GLOBAL__N_125multi_tensor_apply_kernelINS1_18TensorListMetadataILi1EEENS1_27BinaryOpScalarTensorFunctorIaLi1ELi1ELi0EEEJSt4plusIaEPaaEEEvT_T0_DpT1_.numbered_sgpr, 24
	.set _ZN2at6native12_GLOBAL__N_125multi_tensor_apply_kernelINS1_18TensorListMetadataILi1EEENS1_27BinaryOpScalarTensorFunctorIaLi1ELi1ELi0EEEJSt4plusIaEPaaEEEvT_T0_DpT1_.num_named_barrier, 0
	.set _ZN2at6native12_GLOBAL__N_125multi_tensor_apply_kernelINS1_18TensorListMetadataILi1EEENS1_27BinaryOpScalarTensorFunctorIaLi1ELi1ELi0EEEJSt4plusIaEPaaEEEvT_T0_DpT1_.private_seg_size, 0
	.set _ZN2at6native12_GLOBAL__N_125multi_tensor_apply_kernelINS1_18TensorListMetadataILi1EEENS1_27BinaryOpScalarTensorFunctorIaLi1ELi1ELi0EEEJSt4plusIaEPaaEEEvT_T0_DpT1_.uses_vcc, 1
	.set _ZN2at6native12_GLOBAL__N_125multi_tensor_apply_kernelINS1_18TensorListMetadataILi1EEENS1_27BinaryOpScalarTensorFunctorIaLi1ELi1ELi0EEEJSt4plusIaEPaaEEEvT_T0_DpT1_.uses_flat_scratch, 0
	.set _ZN2at6native12_GLOBAL__N_125multi_tensor_apply_kernelINS1_18TensorListMetadataILi1EEENS1_27BinaryOpScalarTensorFunctorIaLi1ELi1ELi0EEEJSt4plusIaEPaaEEEvT_T0_DpT1_.has_dyn_sized_stack, 0
	.set _ZN2at6native12_GLOBAL__N_125multi_tensor_apply_kernelINS1_18TensorListMetadataILi1EEENS1_27BinaryOpScalarTensorFunctorIaLi1ELi1ELi0EEEJSt4plusIaEPaaEEEvT_T0_DpT1_.has_recursion, 0
	.set _ZN2at6native12_GLOBAL__N_125multi_tensor_apply_kernelINS1_18TensorListMetadataILi1EEENS1_27BinaryOpScalarTensorFunctorIaLi1ELi1ELi0EEEJSt4plusIaEPaaEEEvT_T0_DpT1_.has_indirect_call, 0
	.section	.AMDGPU.csdata,"",@progbits
; Kernel info:
; codeLenInByte = 1556
; TotalNumSgprs: 26
; NumVgprs: 21
; ScratchSize: 0
; MemoryBound: 0
; FloatMode: 240
; IeeeMode: 1
; LDSByteSize: 0 bytes/workgroup (compile time only)
; SGPRBlocks: 0
; VGPRBlocks: 2
; NumSGPRsForWavesPerEU: 26
; NumVGPRsForWavesPerEU: 21
; Occupancy: 16
; WaveLimiterHint : 0
; COMPUTE_PGM_RSRC2:SCRATCH_EN: 0
; COMPUTE_PGM_RSRC2:USER_SGPR: 2
; COMPUTE_PGM_RSRC2:TRAP_HANDLER: 0
; COMPUTE_PGM_RSRC2:TGID_X_EN: 1
; COMPUTE_PGM_RSRC2:TGID_Y_EN: 0
; COMPUTE_PGM_RSRC2:TGID_Z_EN: 0
; COMPUTE_PGM_RSRC2:TIDIG_COMP_CNT: 0
	.section	.text._ZN2at6native12_GLOBAL__N_125multi_tensor_apply_kernelINS1_18TensorListMetadataILi1EEENS1_27BinaryOpScalarTensorFunctorIiLi1ELi1ELi0EEEJSt4plusIiEPiiEEEvT_T0_DpT1_,"axG",@progbits,_ZN2at6native12_GLOBAL__N_125multi_tensor_apply_kernelINS1_18TensorListMetadataILi1EEENS1_27BinaryOpScalarTensorFunctorIiLi1ELi1ELi0EEEJSt4plusIiEPiiEEEvT_T0_DpT1_,comdat
	.globl	_ZN2at6native12_GLOBAL__N_125multi_tensor_apply_kernelINS1_18TensorListMetadataILi1EEENS1_27BinaryOpScalarTensorFunctorIiLi1ELi1ELi0EEEJSt4plusIiEPiiEEEvT_T0_DpT1_ ; -- Begin function _ZN2at6native12_GLOBAL__N_125multi_tensor_apply_kernelINS1_18TensorListMetadataILi1EEENS1_27BinaryOpScalarTensorFunctorIiLi1ELi1ELi0EEEJSt4plusIiEPiiEEEvT_T0_DpT1_
	.p2align	8
	.type	_ZN2at6native12_GLOBAL__N_125multi_tensor_apply_kernelINS1_18TensorListMetadataILi1EEENS1_27BinaryOpScalarTensorFunctorIiLi1ELi1ELi0EEEJSt4plusIiEPiiEEEvT_T0_DpT1_,@function
_ZN2at6native12_GLOBAL__N_125multi_tensor_apply_kernelINS1_18TensorListMetadataILi1EEENS1_27BinaryOpScalarTensorFunctorIiLi1ELi1ELi0EEEJSt4plusIiEPiiEEEvT_T0_DpT1_: ; @_ZN2at6native12_GLOBAL__N_125multi_tensor_apply_kernelINS1_18TensorListMetadataILi1EEENS1_27BinaryOpScalarTensorFunctorIiLi1ELi1ELi0EEEJSt4plusIiEPiiEEEvT_T0_DpT1_
; %bb.0:
	s_mov_b32 s2, ttmp9
	s_mov_b32 s3, 0
	s_delay_alu instid0(SALU_CYCLE_1)
	s_mul_u64 s[4:5], s[2:3], 3
	s_add_nc_u64 s[6:7], s[0:1], s[2:3]
	s_mov_b32 s17, s3
	s_add_nc_u64 s[4:5], s[6:7], s[4:5]
	s_clause 0x1
	s_load_b32 s4, s[4:5], 0x820
	s_load_u8 s2, s[0:1], ttmp9 offset:0x6e0
	s_wait_kmcnt 0x0
	s_ashr_i32 s5, s4, 31
	s_lshl_b32 s2, s2, 3
	s_clause 0x2
	s_load_b64 s[6:7], s[0:1], s2 offset:0x0
	s_load_b64 s[14:15], s[0:1], s2 offset:0x370
	s_load_b96 s[8:10], s[0:1], 0xd30
	s_lshl_b64 s[12:13], s[4:5], 18
	s_lshl_b64 s[4:5], s[4:5], 16
	s_wait_kmcnt 0x0
	s_and_b32 s2, s6, 15
	s_and_b32 s16, s14, 3
	s_sub_nc_u64 s[14:15], s[14:15], s[4:5]
	s_or_b64 s[2:3], s[2:3], s[16:17]
	s_delay_alu instid0(SALU_CYCLE_1)
	s_cmp_eq_u64 s[2:3], 0
	s_cbranch_scc1 .LBB2_21
; %bb.1:
	v_cmp_lt_i64_e64 s2, s[14:15], 1
	s_and_b32 vcc_lo, exec_lo, s2
	s_cbranch_vccnz .LBB2_20
; %bb.2:
	s_load_b32 s2, s[0:1], 0xd4c
	v_cmp_gt_i64_e64 s11, 0x10000, s[14:15]
	v_lshlrev_b32_e32 v1, 2, v0
	s_add_nc_u64 s[4:5], s[6:7], s[12:13]
	s_mov_b32 s3, 0
	v_cmp_gt_u64_e64 s16, 0x10000, s[14:15]
	s_mov_b32 s17, s3
	v_add_co_u32 v1, s18, s4, v1
	s_and_b32 s11, s11, exec_lo
	v_add_co_ci_u32_e64 v2, null, s5, 0, s18
	s_cselect_b32 s19, s15, 0
	s_cselect_b32 s18, s14, 0x10000
	v_mov_b32_e32 v5, 0
	s_wait_kmcnt 0x0
	s_and_b32 s2, s2, 0xffff
	s_and_b32 s11, s16, exec_lo
	s_mul_u64 s[22:23], s[2:3], 12
	v_add_co_u32 v6, s3, v0, s2
	s_cselect_b32 s21, s15, 0
	s_cselect_b32 s20, s14, 0x10000
	s_lshl_b32 s11, s2, 1
	v_lshlrev_b32_e32 v3, 2, v6
	s_mul_i32 s24, s2, 3
	v_add_co_ci_u32_e64 v9, null, 0, 0, s3
	v_add_co_u32 v10, s3, s11, v0
	v_add_co_u32 v7, s24, s24, v0
	s_wait_alu 0xf1ff
	v_add_co_ci_u32_e64 v11, null, 0, 0, s3
	v_add_co_u32 v3, s3, s4, v3
	v_add_co_ci_u32_e64 v8, null, 0, 0, s24
	s_wait_alu 0xf1ff
	v_add_co_ci_u32_e64 v4, null, s5, 0, s3
	s_lshl_b32 s16, s2, 2
	s_lshl_b32 s11, s2, 4
	;; [unrolled: 1-line block ×3, first 2 shown]
	s_mov_b64 s[24:25], 0
	s_branch .LBB2_4
.LBB2_3:                                ;   in Loop: Header=BB2_4 Depth=1
	s_wait_alu 0xfffe
	s_or_b32 exec_lo, exec_lo, s2
	s_add_nc_u64 s[24:25], s[24:25], s[16:17]
	v_add_co_u32 v1, vcc_lo, v1, s11
	s_wait_alu 0xfffe
	v_cmp_lt_i64_e64 s2, s[24:25], s[18:19]
	s_wait_alu 0xfffd
	v_add_co_ci_u32_e64 v2, null, 0, v2, vcc_lo
	v_add_co_u32 v3, vcc_lo, v3, s11
	s_wait_alu 0xfffd
	v_add_co_ci_u32_e64 v4, null, 0, v4, vcc_lo
	s_and_b32 vcc_lo, exec_lo, s2
	s_wait_alu 0xfffe
	s_cbranch_vccz .LBB2_20
.LBB2_4:                                ; =>This Inner Loop Header: Depth=1
	s_wait_alu 0xfffe
	v_add_co_u32 v12, s2, v0, s24
	s_wait_alu 0xf1ff
	v_add_co_ci_u32_e64 v13, null, 0, s25, s2
	s_delay_alu instid0(VALU_DEP_1)
	v_cmp_gt_u64_e32 vcc_lo, s[20:21], v[12:13]
	v_mov_b32_e32 v12, 0
	s_and_saveexec_b32 s2, vcc_lo
	s_cbranch_execz .LBB2_6
; %bb.5:                                ;   in Loop: Header=BB2_4 Depth=1
	global_load_b32 v12, v[1:2], off
.LBB2_6:                                ;   in Loop: Header=BB2_4 Depth=1
	s_wait_alu 0xfffe
	s_or_b32 exec_lo, exec_lo, s2
	v_add_co_u32 v13, s2, v6, s24
	s_wait_alu 0xf1ff
	v_add_co_ci_u32_e64 v14, null, s25, v9, s2
	s_delay_alu instid0(VALU_DEP_1)
	v_cmp_gt_u64_e64 s2, s[20:21], v[13:14]
	v_dual_mov_b32 v13, 0 :: v_dual_mov_b32 v14, 0
	s_and_saveexec_b32 s3, s2
	s_cbranch_execz .LBB2_8
; %bb.7:                                ;   in Loop: Header=BB2_4 Depth=1
	global_load_b32 v14, v[3:4], off
.LBB2_8:                                ;   in Loop: Header=BB2_4 Depth=1
	s_wait_alu 0xfffe
	s_or_b32 exec_lo, exec_lo, s3
	v_add_co_u32 v15, s3, v10, s24
	s_wait_alu 0xf1ff
	v_add_co_ci_u32_e64 v16, null, s25, v11, s3
	s_delay_alu instid0(VALU_DEP_1)
	v_cmp_gt_u64_e64 s3, s[20:21], v[15:16]
	s_and_saveexec_b32 s5, s3
	s_cbranch_execz .LBB2_10
; %bb.9:                                ;   in Loop: Header=BB2_4 Depth=1
	v_add_co_u32 v15, s4, v1, s26
	s_wait_alu 0xf1ff
	v_add_co_ci_u32_e64 v16, null, 0, v2, s4
	global_load_b32 v13, v[15:16], off
.LBB2_10:                               ;   in Loop: Header=BB2_4 Depth=1
	s_wait_alu 0xfffe
	s_or_b32 exec_lo, exec_lo, s5
	v_add_co_u32 v15, s4, v7, s24
	s_wait_alu 0xf1ff
	v_add_co_ci_u32_e64 v16, null, s25, v8, s4
	s_delay_alu instid0(VALU_DEP_1)
	v_cmp_gt_u64_e64 s4, s[20:21], v[15:16]
	v_mov_b32_e32 v15, 0
	s_and_saveexec_b32 s27, s4
	s_cbranch_execz .LBB2_12
; %bb.11:                               ;   in Loop: Header=BB2_4 Depth=1
	v_add_co_u32 v15, s5, v1, s22
	s_wait_alu 0xf1ff
	v_add_co_ci_u32_e64 v16, null, s23, v2, s5
	global_load_b32 v15, v[15:16], off
.LBB2_12:                               ;   in Loop: Header=BB2_4 Depth=1
	s_wait_alu 0xfffe
	s_or_b32 exec_lo, exec_lo, s27
	global_load_b32 v16, v5, s[8:9]
	s_wait_loadcnt 0x0
	v_mul_lo_u32 v16, v16, s10
	s_and_saveexec_b32 s5, vcc_lo
	s_cbranch_execnz .LBB2_16
; %bb.13:                               ;   in Loop: Header=BB2_4 Depth=1
	s_wait_alu 0xfffe
	s_or_b32 exec_lo, exec_lo, s5
	s_and_saveexec_b32 s5, s2
	s_cbranch_execnz .LBB2_17
.LBB2_14:                               ;   in Loop: Header=BB2_4 Depth=1
	s_wait_alu 0xfffe
	s_or_b32 exec_lo, exec_lo, s5
	s_and_saveexec_b32 s2, s3
	s_cbranch_execnz .LBB2_18
.LBB2_15:                               ;   in Loop: Header=BB2_4 Depth=1
	s_wait_alu 0xfffe
	s_or_b32 exec_lo, exec_lo, s2
	s_and_saveexec_b32 s2, s4
	s_cbranch_execz .LBB2_3
	s_branch .LBB2_19
.LBB2_16:                               ;   in Loop: Header=BB2_4 Depth=1
	s_delay_alu instid0(VALU_DEP_1)
	v_add_nc_u32_e32 v12, v16, v12
	global_store_b32 v[1:2], v12, off
	s_wait_alu 0xfffe
	s_or_b32 exec_lo, exec_lo, s5
	s_and_saveexec_b32 s5, s2
	s_cbranch_execz .LBB2_14
.LBB2_17:                               ;   in Loop: Header=BB2_4 Depth=1
	s_delay_alu instid0(VALU_DEP_1)
	v_add_nc_u32_e32 v12, v16, v14
	global_store_b32 v[3:4], v12, off
	s_wait_alu 0xfffe
	s_or_b32 exec_lo, exec_lo, s5
	s_and_saveexec_b32 s2, s3
	s_cbranch_execz .LBB2_15
.LBB2_18:                               ;   in Loop: Header=BB2_4 Depth=1
	v_add_co_u32 v12, vcc_lo, v1, s26
	v_add_nc_u32_e32 v14, v16, v13
	s_wait_alu 0xfffd
	v_add_co_ci_u32_e64 v13, null, 0, v2, vcc_lo
	global_store_b32 v[12:13], v14, off
	s_wait_alu 0xfffe
	s_or_b32 exec_lo, exec_lo, s2
	s_and_saveexec_b32 s2, s4
	s_cbranch_execz .LBB2_3
.LBB2_19:                               ;   in Loop: Header=BB2_4 Depth=1
	v_add_co_u32 v12, vcc_lo, v1, s22
	v_add_nc_u32_e32 v14, v16, v15
	s_wait_alu 0xfffd
	v_add_co_ci_u32_e64 v13, null, s23, v2, vcc_lo
	global_store_b32 v[12:13], v14, off
	s_branch .LBB2_3
.LBB2_20:
	s_cbranch_execz .LBB2_22
	s_branch .LBB2_25
.LBB2_21:
.LBB2_22:
	v_cmp_gt_i64_e64 s2, 0x10000, s[14:15]
	v_dual_mov_b32 v2, 0 :: v_dual_lshlrev_b32 v1, 2, v0
	s_mov_b32 s4, 0
	s_mov_b32 s5, exec_lo
	s_and_b32 s2, s2, exec_lo
	s_cselect_b32 s3, s15, 0
	s_cselect_b32 s2, s14, 0x10000
	s_wait_alu 0xfffe
	v_cmpx_gt_i64_e64 s[2:3], v[1:2]
	s_cbranch_execz .LBB2_25
; %bb.23:
	s_load_b32 s5, s[0:1], 0xd4c
	v_lshlrev_b32_e32 v1, 4, v0
	s_add_nc_u64 s[0:1], s[6:7], s[12:13]
	s_delay_alu instid0(VALU_DEP_1) | instid1(SALU_CYCLE_1)
	v_add_co_u32 v3, s0, s0, v1
	s_wait_alu 0xf1ff
	v_add_co_ci_u32_e64 v4, null, s1, 0, s0
	v_mov_b32_e32 v1, v2
	s_delay_alu instid0(VALU_DEP_3) | instskip(SKIP_1) | instid1(VALU_DEP_3)
	v_add_co_u32 v3, vcc_lo, v3, 8
	s_wait_alu 0xfffd
	v_add_co_ci_u32_e64 v4, null, 0, v4, vcc_lo
	s_wait_kmcnt 0x0
	s_and_b32 s1, s5, 0xffff
	s_wait_alu 0xfffe
	s_lshl_b32 s5, s1, 4
.LBB2_24:                               ; =>This Inner Loop Header: Depth=1
	global_load_b32 v11, v2, s[8:9]
	global_load_b128 v[5:8], v[3:4], off offset:-8
	v_add_co_u32 v0, vcc_lo, v0, s1
	s_wait_alu 0xfffd
	v_add_co_ci_u32_e64 v1, null, 0, v1, vcc_lo
	s_delay_alu instid0(VALU_DEP_1) | instskip(NEXT) | instid1(VALU_DEP_1)
	v_lshlrev_b64_e32 v[9:10], 2, v[0:1]
	v_cmp_le_i64_e32 vcc_lo, s[2:3], v[9:10]
	s_or_b32 s4, vcc_lo, s4
	s_wait_loadcnt 0x1
	v_mul_lo_u32 v9, v11, s10
	s_wait_loadcnt 0x0
	s_delay_alu instid0(VALU_DEP_1)
	v_add_nc_u32_e32 v5, v9, v5
	v_add_nc_u32_e32 v6, v9, v6
	;; [unrolled: 1-line block ×4, first 2 shown]
	global_store_b128 v[3:4], v[5:8], off offset:-8
	s_wait_alu 0xfffe
	v_add_co_u32 v3, s0, v3, s5
	s_wait_alu 0xf1ff
	v_add_co_ci_u32_e64 v4, null, 0, v4, s0
	s_and_not1_b32 exec_lo, exec_lo, s4
	s_cbranch_execnz .LBB2_24
.LBB2_25:
	s_endpgm
	.section	.rodata,"a",@progbits
	.p2align	6, 0x0
	.amdhsa_kernel _ZN2at6native12_GLOBAL__N_125multi_tensor_apply_kernelINS1_18TensorListMetadataILi1EEENS1_27BinaryOpScalarTensorFunctorIiLi1ELi1ELi0EEEJSt4plusIiEPiiEEEvT_T0_DpT1_
		.amdhsa_group_segment_fixed_size 0
		.amdhsa_private_segment_fixed_size 0
		.amdhsa_kernarg_size 3648
		.amdhsa_user_sgpr_count 2
		.amdhsa_user_sgpr_dispatch_ptr 0
		.amdhsa_user_sgpr_queue_ptr 0
		.amdhsa_user_sgpr_kernarg_segment_ptr 1
		.amdhsa_user_sgpr_dispatch_id 0
		.amdhsa_user_sgpr_private_segment_size 0
		.amdhsa_wavefront_size32 1
		.amdhsa_uses_dynamic_stack 0
		.amdhsa_enable_private_segment 0
		.amdhsa_system_sgpr_workgroup_id_x 1
		.amdhsa_system_sgpr_workgroup_id_y 0
		.amdhsa_system_sgpr_workgroup_id_z 0
		.amdhsa_system_sgpr_workgroup_info 0
		.amdhsa_system_vgpr_workitem_id 0
		.amdhsa_next_free_vgpr 17
		.amdhsa_next_free_sgpr 28
		.amdhsa_reserve_vcc 1
		.amdhsa_float_round_mode_32 0
		.amdhsa_float_round_mode_16_64 0
		.amdhsa_float_denorm_mode_32 3
		.amdhsa_float_denorm_mode_16_64 3
		.amdhsa_fp16_overflow 0
		.amdhsa_workgroup_processor_mode 1
		.amdhsa_memory_ordered 1
		.amdhsa_forward_progress 1
		.amdhsa_inst_pref_size 11
		.amdhsa_round_robin_scheduling 0
		.amdhsa_exception_fp_ieee_invalid_op 0
		.amdhsa_exception_fp_denorm_src 0
		.amdhsa_exception_fp_ieee_div_zero 0
		.amdhsa_exception_fp_ieee_overflow 0
		.amdhsa_exception_fp_ieee_underflow 0
		.amdhsa_exception_fp_ieee_inexact 0
		.amdhsa_exception_int_div_zero 0
	.end_amdhsa_kernel
	.section	.text._ZN2at6native12_GLOBAL__N_125multi_tensor_apply_kernelINS1_18TensorListMetadataILi1EEENS1_27BinaryOpScalarTensorFunctorIiLi1ELi1ELi0EEEJSt4plusIiEPiiEEEvT_T0_DpT1_,"axG",@progbits,_ZN2at6native12_GLOBAL__N_125multi_tensor_apply_kernelINS1_18TensorListMetadataILi1EEENS1_27BinaryOpScalarTensorFunctorIiLi1ELi1ELi0EEEJSt4plusIiEPiiEEEvT_T0_DpT1_,comdat
.Lfunc_end2:
	.size	_ZN2at6native12_GLOBAL__N_125multi_tensor_apply_kernelINS1_18TensorListMetadataILi1EEENS1_27BinaryOpScalarTensorFunctorIiLi1ELi1ELi0EEEJSt4plusIiEPiiEEEvT_T0_DpT1_, .Lfunc_end2-_ZN2at6native12_GLOBAL__N_125multi_tensor_apply_kernelINS1_18TensorListMetadataILi1EEENS1_27BinaryOpScalarTensorFunctorIiLi1ELi1ELi0EEEJSt4plusIiEPiiEEEvT_T0_DpT1_
                                        ; -- End function
	.set _ZN2at6native12_GLOBAL__N_125multi_tensor_apply_kernelINS1_18TensorListMetadataILi1EEENS1_27BinaryOpScalarTensorFunctorIiLi1ELi1ELi0EEEJSt4plusIiEPiiEEEvT_T0_DpT1_.num_vgpr, 17
	.set _ZN2at6native12_GLOBAL__N_125multi_tensor_apply_kernelINS1_18TensorListMetadataILi1EEENS1_27BinaryOpScalarTensorFunctorIiLi1ELi1ELi0EEEJSt4plusIiEPiiEEEvT_T0_DpT1_.num_agpr, 0
	.set _ZN2at6native12_GLOBAL__N_125multi_tensor_apply_kernelINS1_18TensorListMetadataILi1EEENS1_27BinaryOpScalarTensorFunctorIiLi1ELi1ELi0EEEJSt4plusIiEPiiEEEvT_T0_DpT1_.numbered_sgpr, 28
	.set _ZN2at6native12_GLOBAL__N_125multi_tensor_apply_kernelINS1_18TensorListMetadataILi1EEENS1_27BinaryOpScalarTensorFunctorIiLi1ELi1ELi0EEEJSt4plusIiEPiiEEEvT_T0_DpT1_.num_named_barrier, 0
	.set _ZN2at6native12_GLOBAL__N_125multi_tensor_apply_kernelINS1_18TensorListMetadataILi1EEENS1_27BinaryOpScalarTensorFunctorIiLi1ELi1ELi0EEEJSt4plusIiEPiiEEEvT_T0_DpT1_.private_seg_size, 0
	.set _ZN2at6native12_GLOBAL__N_125multi_tensor_apply_kernelINS1_18TensorListMetadataILi1EEENS1_27BinaryOpScalarTensorFunctorIiLi1ELi1ELi0EEEJSt4plusIiEPiiEEEvT_T0_DpT1_.uses_vcc, 1
	.set _ZN2at6native12_GLOBAL__N_125multi_tensor_apply_kernelINS1_18TensorListMetadataILi1EEENS1_27BinaryOpScalarTensorFunctorIiLi1ELi1ELi0EEEJSt4plusIiEPiiEEEvT_T0_DpT1_.uses_flat_scratch, 0
	.set _ZN2at6native12_GLOBAL__N_125multi_tensor_apply_kernelINS1_18TensorListMetadataILi1EEENS1_27BinaryOpScalarTensorFunctorIiLi1ELi1ELi0EEEJSt4plusIiEPiiEEEvT_T0_DpT1_.has_dyn_sized_stack, 0
	.set _ZN2at6native12_GLOBAL__N_125multi_tensor_apply_kernelINS1_18TensorListMetadataILi1EEENS1_27BinaryOpScalarTensorFunctorIiLi1ELi1ELi0EEEJSt4plusIiEPiiEEEvT_T0_DpT1_.has_recursion, 0
	.set _ZN2at6native12_GLOBAL__N_125multi_tensor_apply_kernelINS1_18TensorListMetadataILi1EEENS1_27BinaryOpScalarTensorFunctorIiLi1ELi1ELi0EEEJSt4plusIiEPiiEEEvT_T0_DpT1_.has_indirect_call, 0
	.section	.AMDGPU.csdata,"",@progbits
; Kernel info:
; codeLenInByte = 1284
; TotalNumSgprs: 30
; NumVgprs: 17
; ScratchSize: 0
; MemoryBound: 0
; FloatMode: 240
; IeeeMode: 1
; LDSByteSize: 0 bytes/workgroup (compile time only)
; SGPRBlocks: 0
; VGPRBlocks: 2
; NumSGPRsForWavesPerEU: 30
; NumVGPRsForWavesPerEU: 17
; Occupancy: 16
; WaveLimiterHint : 0
; COMPUTE_PGM_RSRC2:SCRATCH_EN: 0
; COMPUTE_PGM_RSRC2:USER_SGPR: 2
; COMPUTE_PGM_RSRC2:TRAP_HANDLER: 0
; COMPUTE_PGM_RSRC2:TGID_X_EN: 1
; COMPUTE_PGM_RSRC2:TGID_Y_EN: 0
; COMPUTE_PGM_RSRC2:TGID_Z_EN: 0
; COMPUTE_PGM_RSRC2:TIDIG_COMP_CNT: 0
	.section	.text._ZN2at6native12_GLOBAL__N_125multi_tensor_apply_kernelINS1_18TensorListMetadataILi1EEENS1_27BinaryOpScalarTensorFunctorIlLi1ELi1ELi0EEEJSt4plusIlEPllEEEvT_T0_DpT1_,"axG",@progbits,_ZN2at6native12_GLOBAL__N_125multi_tensor_apply_kernelINS1_18TensorListMetadataILi1EEENS1_27BinaryOpScalarTensorFunctorIlLi1ELi1ELi0EEEJSt4plusIlEPllEEEvT_T0_DpT1_,comdat
	.globl	_ZN2at6native12_GLOBAL__N_125multi_tensor_apply_kernelINS1_18TensorListMetadataILi1EEENS1_27BinaryOpScalarTensorFunctorIlLi1ELi1ELi0EEEJSt4plusIlEPllEEEvT_T0_DpT1_ ; -- Begin function _ZN2at6native12_GLOBAL__N_125multi_tensor_apply_kernelINS1_18TensorListMetadataILi1EEENS1_27BinaryOpScalarTensorFunctorIlLi1ELi1ELi0EEEJSt4plusIlEPllEEEvT_T0_DpT1_
	.p2align	8
	.type	_ZN2at6native12_GLOBAL__N_125multi_tensor_apply_kernelINS1_18TensorListMetadataILi1EEENS1_27BinaryOpScalarTensorFunctorIlLi1ELi1ELi0EEEJSt4plusIlEPllEEEvT_T0_DpT1_,@function
_ZN2at6native12_GLOBAL__N_125multi_tensor_apply_kernelINS1_18TensorListMetadataILi1EEENS1_27BinaryOpScalarTensorFunctorIlLi1ELi1ELi0EEEJSt4plusIlEPllEEEvT_T0_DpT1_: ; @_ZN2at6native12_GLOBAL__N_125multi_tensor_apply_kernelINS1_18TensorListMetadataILi1EEENS1_27BinaryOpScalarTensorFunctorIlLi1ELi1ELi0EEEJSt4plusIlEPllEEEvT_T0_DpT1_
; %bb.0:
	s_mov_b32 s2, ttmp9
	s_mov_b32 s3, 0
	s_delay_alu instid0(SALU_CYCLE_1)
	s_mul_u64 s[4:5], s[2:3], 3
	s_add_nc_u64 s[6:7], s[0:1], s[2:3]
	s_mov_b32 s17, s3
	s_add_nc_u64 s[4:5], s[6:7], s[4:5]
	s_clause 0x1
	s_load_b32 s4, s[4:5], 0x820
	s_load_u8 s2, s[0:1], ttmp9 offset:0x6e0
	s_wait_kmcnt 0x0
	s_ashr_i32 s5, s4, 31
	s_lshl_b32 s2, s2, 3
	s_clause 0x2
	s_load_b64 s[6:7], s[0:1], s2 offset:0x0
	s_load_b64 s[14:15], s[0:1], s2 offset:0x370
	s_load_b128 s[8:11], s[0:1], 0xd30
	s_lshl_b64 s[12:13], s[4:5], 19
	s_lshl_b64 s[4:5], s[4:5], 16
	s_wait_kmcnt 0x0
	s_and_b32 s2, s6, 31
	s_and_b32 s16, s14, 3
	s_sub_nc_u64 s[14:15], s[14:15], s[4:5]
	s_or_b64 s[2:3], s[2:3], s[16:17]
	s_delay_alu instid0(SALU_CYCLE_1)
	s_cmp_eq_u64 s[2:3], 0
	s_cbranch_scc1 .LBB3_21
; %bb.1:
	v_cmp_lt_i64_e64 s2, s[14:15], 1
	s_and_b32 vcc_lo, exec_lo, s2
	s_cbranch_vccnz .LBB3_20
; %bb.2:
	s_load_b32 s2, s[0:1], 0xd4c
	v_cmp_gt_i64_e64 s16, 0x10000, s[14:15]
	v_lshlrev_b32_e32 v1, 3, v0
	s_add_nc_u64 s[4:5], s[6:7], s[12:13]
	s_mov_b32 s3, 0
	v_cmp_gt_u64_e64 s20, 0x10000, s[14:15]
	s_mov_b32 s17, s3
	v_add_co_u32 v1, s18, s4, v1
	s_and_b32 s16, s16, exec_lo
	v_add_co_ci_u32_e64 v2, null, s5, 0, s18
	s_cselect_b32 s19, s15, 0
	s_cselect_b32 s18, s14, 0x10000
	v_mov_b32_e32 v13, 0
	s_wait_kmcnt 0x0
	s_and_b32 s2, s2, 0xffff
	s_and_b32 s16, s20, exec_lo
	s_mul_u64 s[22:23], s[2:3], 24
	v_add_co_u32 v14, s3, v0, s2
	s_cselect_b32 s21, s15, 0
	s_cselect_b32 s20, s14, 0x10000
	s_lshl_b32 s24, s2, 1
	v_lshlrev_b32_e32 v3, 3, v14
	s_mul_i32 s25, s2, 3
	v_add_co_ci_u32_e64 v17, null, 0, 0, s3
	v_add_co_u32 v18, s3, s24, v0
	v_add_co_u32 v15, s25, s25, v0
	s_wait_alu 0xf1ff
	v_add_co_ci_u32_e64 v19, null, 0, 0, s3
	v_add_co_u32 v3, s3, s4, v3
	v_add_co_ci_u32_e64 v16, null, 0, 0, s25
	s_wait_alu 0xf1ff
	v_add_co_ci_u32_e64 v4, null, s5, 0, s3
	s_lshl_b32 s16, s2, 2
	s_lshl_b32 s26, s2, 5
	;; [unrolled: 1-line block ×3, first 2 shown]
	s_mov_b64 s[24:25], 0
	s_branch .LBB3_4
.LBB3_3:                                ;   in Loop: Header=BB3_4 Depth=1
	s_wait_alu 0xfffe
	s_or_b32 exec_lo, exec_lo, s2
	s_add_nc_u64 s[24:25], s[24:25], s[16:17]
	v_add_co_u32 v1, vcc_lo, v1, s26
	s_wait_alu 0xfffe
	v_cmp_lt_i64_e64 s2, s[24:25], s[18:19]
	s_wait_alu 0xfffd
	v_add_co_ci_u32_e64 v2, null, 0, v2, vcc_lo
	v_add_co_u32 v3, vcc_lo, v3, s26
	s_wait_alu 0xfffd
	v_add_co_ci_u32_e64 v4, null, 0, v4, vcc_lo
	s_and_b32 vcc_lo, exec_lo, s2
	s_wait_alu 0xfffe
	s_cbranch_vccz .LBB3_20
.LBB3_4:                                ; =>This Inner Loop Header: Depth=1
	s_wait_alu 0xfffe
	v_add_co_u32 v7, s2, v0, s24
	s_wait_alu 0xf1ff
	v_add_co_ci_u32_e64 v8, null, 0, s25, s2
	v_mov_b32_e32 v5, 0
	v_dual_mov_b32 v6, 0 :: v_dual_mov_b32 v9, 0
	s_delay_alu instid0(VALU_DEP_3)
	v_cmp_gt_u64_e32 vcc_lo, s[20:21], v[7:8]
	v_mov_b32_e32 v10, 0
	s_and_saveexec_b32 s2, vcc_lo
	s_cbranch_execz .LBB3_6
; %bb.5:                                ;   in Loop: Header=BB3_4 Depth=1
	global_load_b64 v[9:10], v[1:2], off
.LBB3_6:                                ;   in Loop: Header=BB3_4 Depth=1
	s_wait_alu 0xfffe
	s_or_b32 exec_lo, exec_lo, s2
	v_add_co_u32 v7, s2, v14, s24
	s_wait_alu 0xf1ff
	v_add_co_ci_u32_e64 v8, null, s25, v17, s2
	s_delay_alu instid0(VALU_DEP_1)
	v_cmp_gt_u64_e64 s2, s[20:21], v[7:8]
	s_and_saveexec_b32 s3, s2
	s_cbranch_execz .LBB3_8
; %bb.7:                                ;   in Loop: Header=BB3_4 Depth=1
	global_load_b64 v[5:6], v[3:4], off
.LBB3_8:                                ;   in Loop: Header=BB3_4 Depth=1
	s_wait_alu 0xfffe
	s_or_b32 exec_lo, exec_lo, s3
	v_add_co_u32 v11, s3, v18, s24
	s_wait_alu 0xf1ff
	v_add_co_ci_u32_e64 v12, null, s25, v19, s3
	v_mov_b32_e32 v7, 0
	v_mov_b32_e32 v8, 0
	s_delay_alu instid0(VALU_DEP_3)
	v_cmp_gt_u64_e64 s3, s[20:21], v[11:12]
	v_mov_b32_e32 v11, 0
	v_mov_b32_e32 v12, 0
	s_and_saveexec_b32 s5, s3
	s_cbranch_execz .LBB3_10
; %bb.9:                                ;   in Loop: Header=BB3_4 Depth=1
	v_add_co_u32 v11, s4, v1, s27
	s_wait_alu 0xf1ff
	v_add_co_ci_u32_e64 v12, null, 0, v2, s4
	global_load_b64 v[11:12], v[11:12], off
.LBB3_10:                               ;   in Loop: Header=BB3_4 Depth=1
	s_wait_alu 0xfffe
	s_or_b32 exec_lo, exec_lo, s5
	v_add_co_u32 v20, s4, v15, s24
	s_wait_alu 0xf1ff
	v_add_co_ci_u32_e64 v21, null, s25, v16, s4
	s_delay_alu instid0(VALU_DEP_1)
	v_cmp_gt_u64_e64 s4, s[20:21], v[20:21]
	s_and_saveexec_b32 s28, s4
	s_cbranch_execz .LBB3_12
; %bb.11:                               ;   in Loop: Header=BB3_4 Depth=1
	v_add_co_u32 v7, s5, v1, s22
	s_wait_alu 0xf1ff
	v_add_co_ci_u32_e64 v8, null, s23, v2, s5
	global_load_b64 v[7:8], v[7:8], off
.LBB3_12:                               ;   in Loop: Header=BB3_4 Depth=1
	s_or_b32 exec_lo, exec_lo, s28
	global_load_b64 v[20:21], v13, s[8:9]
	s_wait_loadcnt 0x0
	v_mul_lo_u32 v21, s10, v21
	v_mul_lo_u32 v22, s11, v20
	v_mul_hi_u32 v23, s10, v20
	v_mul_lo_u32 v20, s10, v20
	s_delay_alu instid0(VALU_DEP_3) | instskip(NEXT) | instid1(VALU_DEP_1)
	v_add_nc_u32_e32 v21, v21, v22
	v_add_nc_u32_e32 v21, v21, v23
	s_and_saveexec_b32 s5, vcc_lo
	s_cbranch_execnz .LBB3_16
; %bb.13:                               ;   in Loop: Header=BB3_4 Depth=1
	s_wait_alu 0xfffe
	s_or_b32 exec_lo, exec_lo, s5
	s_and_saveexec_b32 s5, s2
	s_cbranch_execnz .LBB3_17
.LBB3_14:                               ;   in Loop: Header=BB3_4 Depth=1
	s_wait_alu 0xfffe
	s_or_b32 exec_lo, exec_lo, s5
	s_and_saveexec_b32 s2, s3
	s_cbranch_execnz .LBB3_18
.LBB3_15:                               ;   in Loop: Header=BB3_4 Depth=1
	s_wait_alu 0xfffe
	s_or_b32 exec_lo, exec_lo, s2
	s_and_saveexec_b32 s2, s4
	s_cbranch_execz .LBB3_3
	s_branch .LBB3_19
.LBB3_16:                               ;   in Loop: Header=BB3_4 Depth=1
	s_delay_alu instid0(VALU_DEP_3)
	v_add_co_u32 v9, vcc_lo, v20, v9
	s_wait_alu 0xfffd
	v_add_co_ci_u32_e64 v10, null, v21, v10, vcc_lo
	global_store_b64 v[1:2], v[9:10], off
	s_wait_alu 0xfffe
	s_or_b32 exec_lo, exec_lo, s5
	s_and_saveexec_b32 s5, s2
	s_cbranch_execz .LBB3_14
.LBB3_17:                               ;   in Loop: Header=BB3_4 Depth=1
	v_add_co_u32 v5, vcc_lo, v20, v5
	s_wait_alu 0xfffd
	v_add_co_ci_u32_e64 v6, null, v21, v6, vcc_lo
	global_store_b64 v[3:4], v[5:6], off
	s_wait_alu 0xfffe
	s_or_b32 exec_lo, exec_lo, s5
	s_and_saveexec_b32 s2, s3
	s_cbranch_execz .LBB3_15
.LBB3_18:                               ;   in Loop: Header=BB3_4 Depth=1
	v_add_co_u32 v5, vcc_lo, v20, v11
	s_wait_alu 0xfffd
	v_add_co_ci_u32_e64 v6, null, v21, v12, vcc_lo
	v_add_co_u32 v9, vcc_lo, v1, s27
	s_wait_alu 0xfffd
	v_add_co_ci_u32_e64 v10, null, 0, v2, vcc_lo
	global_store_b64 v[9:10], v[5:6], off
	s_wait_alu 0xfffe
	s_or_b32 exec_lo, exec_lo, s2
	s_and_saveexec_b32 s2, s4
	s_cbranch_execz .LBB3_3
.LBB3_19:                               ;   in Loop: Header=BB3_4 Depth=1
	v_add_co_u32 v5, vcc_lo, v20, v7
	s_wait_alu 0xfffd
	v_add_co_ci_u32_e64 v6, null, v21, v8, vcc_lo
	v_add_co_u32 v7, vcc_lo, v1, s22
	s_wait_alu 0xfffd
	v_add_co_ci_u32_e64 v8, null, s23, v2, vcc_lo
	global_store_b64 v[7:8], v[5:6], off
	s_branch .LBB3_3
.LBB3_20:
	s_cbranch_execz .LBB3_22
	s_branch .LBB3_25
.LBB3_21:
.LBB3_22:
	v_cmp_gt_i64_e64 s2, 0x10000, s[14:15]
	v_dual_mov_b32 v2, 0 :: v_dual_lshlrev_b32 v1, 2, v0
	s_and_b32 s2, s2, exec_lo
	s_cselect_b32 s5, s15, 0
	s_cselect_b32 s4, s14, 0x10000
	s_mov_b32 s14, 0
	s_mov_b32 s2, exec_lo
	s_wait_alu 0xfffe
	v_cmpx_gt_i64_e64 s[4:5], v[1:2]
	s_cbranch_execz .LBB3_25
; %bb.23:
	s_load_b32 s2, s[0:1], 0xd4c
	v_lshlrev_b32_e32 v1, 5, v0
	s_add_nc_u64 s[0:1], s[6:7], s[12:13]
	s_delay_alu instid0(VALU_DEP_1) | instid1(SALU_CYCLE_1)
	v_add_co_u32 v3, s0, s0, v1
	s_wait_alu 0xf1ff
	v_add_co_ci_u32_e64 v4, null, s1, 0, s0
	v_mov_b32_e32 v1, v2
	s_delay_alu instid0(VALU_DEP_3) | instskip(SKIP_1) | instid1(VALU_DEP_3)
	v_add_co_u32 v3, vcc_lo, v3, 16
	s_wait_alu 0xfffd
	v_add_co_ci_u32_e64 v4, null, 0, v4, vcc_lo
	s_wait_kmcnt 0x0
	s_and_b32 s6, s2, 0xffff
	s_delay_alu instid0(SALU_CYCLE_1)
	s_lshl_b32 s7, s6, 5
.LBB3_24:                               ; =>This Inner Loop Header: Depth=1
	global_load_b64 v[13:14], v2, s[8:9]
	s_clause 0x1
	global_load_b128 v[5:8], v[3:4], off offset:-16
	global_load_b128 v[9:12], v[3:4], off
	v_add_co_u32 v0, vcc_lo, v0, s6
	s_wait_alu 0xfffd
	v_add_co_ci_u32_e64 v1, null, 0, v1, vcc_lo
	s_delay_alu instid0(VALU_DEP_1) | instskip(NEXT) | instid1(VALU_DEP_1)
	v_lshlrev_b64_e32 v[15:16], 2, v[0:1]
	v_cmp_le_i64_e32 vcc_lo, s[4:5], v[15:16]
	s_or_b32 s14, vcc_lo, s14
	s_wait_loadcnt 0x2
	v_mul_lo_u32 v14, s10, v14
	v_mul_lo_u32 v15, s11, v13
	v_mul_hi_u32 v16, s10, v13
	v_mul_lo_u32 v13, s10, v13
	s_delay_alu instid0(VALU_DEP_3) | instskip(SKIP_1) | instid1(VALU_DEP_2)
	v_add_nc_u32_e32 v14, v14, v15
	s_wait_loadcnt 0x1
	v_add_co_u32 v7, s0, v13, v7
	v_add_co_u32 v5, s3, v13, v5
	s_delay_alu instid0(VALU_DEP_3)
	v_add_nc_u32_e32 v14, v14, v16
	s_wait_loadcnt 0x0
	v_add_co_u32 v9, s1, v13, v9
	v_add_co_u32 v11, s2, v13, v11
	s_wait_alu 0xf1ff
	v_add_co_ci_u32_e64 v6, null, v14, v6, s3
	v_add_co_ci_u32_e64 v8, null, v14, v8, s0
	;; [unrolled: 1-line block ×4, first 2 shown]
	s_clause 0x1
	global_store_b128 v[3:4], v[5:8], off offset:-16
	global_store_b128 v[3:4], v[9:12], off
	v_add_co_u32 v3, s0, v3, s7
	s_wait_alu 0xf1ff
	v_add_co_ci_u32_e64 v4, null, 0, v4, s0
	s_wait_alu 0xfffe
	s_and_not1_b32 exec_lo, exec_lo, s14
	s_cbranch_execnz .LBB3_24
.LBB3_25:
	s_endpgm
	.section	.rodata,"a",@progbits
	.p2align	6, 0x0
	.amdhsa_kernel _ZN2at6native12_GLOBAL__N_125multi_tensor_apply_kernelINS1_18TensorListMetadataILi1EEENS1_27BinaryOpScalarTensorFunctorIlLi1ELi1ELi0EEEJSt4plusIlEPllEEEvT_T0_DpT1_
		.amdhsa_group_segment_fixed_size 0
		.amdhsa_private_segment_fixed_size 0
		.amdhsa_kernarg_size 3648
		.amdhsa_user_sgpr_count 2
		.amdhsa_user_sgpr_dispatch_ptr 0
		.amdhsa_user_sgpr_queue_ptr 0
		.amdhsa_user_sgpr_kernarg_segment_ptr 1
		.amdhsa_user_sgpr_dispatch_id 0
		.amdhsa_user_sgpr_private_segment_size 0
		.amdhsa_wavefront_size32 1
		.amdhsa_uses_dynamic_stack 0
		.amdhsa_enable_private_segment 0
		.amdhsa_system_sgpr_workgroup_id_x 1
		.amdhsa_system_sgpr_workgroup_id_y 0
		.amdhsa_system_sgpr_workgroup_id_z 0
		.amdhsa_system_sgpr_workgroup_info 0
		.amdhsa_system_vgpr_workitem_id 0
		.amdhsa_next_free_vgpr 24
		.amdhsa_next_free_sgpr 29
		.amdhsa_reserve_vcc 1
		.amdhsa_float_round_mode_32 0
		.amdhsa_float_round_mode_16_64 0
		.amdhsa_float_denorm_mode_32 3
		.amdhsa_float_denorm_mode_16_64 3
		.amdhsa_fp16_overflow 0
		.amdhsa_workgroup_processor_mode 1
		.amdhsa_memory_ordered 1
		.amdhsa_forward_progress 1
		.amdhsa_inst_pref_size 12
		.amdhsa_round_robin_scheduling 0
		.amdhsa_exception_fp_ieee_invalid_op 0
		.amdhsa_exception_fp_denorm_src 0
		.amdhsa_exception_fp_ieee_div_zero 0
		.amdhsa_exception_fp_ieee_overflow 0
		.amdhsa_exception_fp_ieee_underflow 0
		.amdhsa_exception_fp_ieee_inexact 0
		.amdhsa_exception_int_div_zero 0
	.end_amdhsa_kernel
	.section	.text._ZN2at6native12_GLOBAL__N_125multi_tensor_apply_kernelINS1_18TensorListMetadataILi1EEENS1_27BinaryOpScalarTensorFunctorIlLi1ELi1ELi0EEEJSt4plusIlEPllEEEvT_T0_DpT1_,"axG",@progbits,_ZN2at6native12_GLOBAL__N_125multi_tensor_apply_kernelINS1_18TensorListMetadataILi1EEENS1_27BinaryOpScalarTensorFunctorIlLi1ELi1ELi0EEEJSt4plusIlEPllEEEvT_T0_DpT1_,comdat
.Lfunc_end3:
	.size	_ZN2at6native12_GLOBAL__N_125multi_tensor_apply_kernelINS1_18TensorListMetadataILi1EEENS1_27BinaryOpScalarTensorFunctorIlLi1ELi1ELi0EEEJSt4plusIlEPllEEEvT_T0_DpT1_, .Lfunc_end3-_ZN2at6native12_GLOBAL__N_125multi_tensor_apply_kernelINS1_18TensorListMetadataILi1EEENS1_27BinaryOpScalarTensorFunctorIlLi1ELi1ELi0EEEJSt4plusIlEPllEEEvT_T0_DpT1_
                                        ; -- End function
	.set _ZN2at6native12_GLOBAL__N_125multi_tensor_apply_kernelINS1_18TensorListMetadataILi1EEENS1_27BinaryOpScalarTensorFunctorIlLi1ELi1ELi0EEEJSt4plusIlEPllEEEvT_T0_DpT1_.num_vgpr, 24
	.set _ZN2at6native12_GLOBAL__N_125multi_tensor_apply_kernelINS1_18TensorListMetadataILi1EEENS1_27BinaryOpScalarTensorFunctorIlLi1ELi1ELi0EEEJSt4plusIlEPllEEEvT_T0_DpT1_.num_agpr, 0
	.set _ZN2at6native12_GLOBAL__N_125multi_tensor_apply_kernelINS1_18TensorListMetadataILi1EEENS1_27BinaryOpScalarTensorFunctorIlLi1ELi1ELi0EEEJSt4plusIlEPllEEEvT_T0_DpT1_.numbered_sgpr, 29
	.set _ZN2at6native12_GLOBAL__N_125multi_tensor_apply_kernelINS1_18TensorListMetadataILi1EEENS1_27BinaryOpScalarTensorFunctorIlLi1ELi1ELi0EEEJSt4plusIlEPllEEEvT_T0_DpT1_.num_named_barrier, 0
	.set _ZN2at6native12_GLOBAL__N_125multi_tensor_apply_kernelINS1_18TensorListMetadataILi1EEENS1_27BinaryOpScalarTensorFunctorIlLi1ELi1ELi0EEEJSt4plusIlEPllEEEvT_T0_DpT1_.private_seg_size, 0
	.set _ZN2at6native12_GLOBAL__N_125multi_tensor_apply_kernelINS1_18TensorListMetadataILi1EEENS1_27BinaryOpScalarTensorFunctorIlLi1ELi1ELi0EEEJSt4plusIlEPllEEEvT_T0_DpT1_.uses_vcc, 1
	.set _ZN2at6native12_GLOBAL__N_125multi_tensor_apply_kernelINS1_18TensorListMetadataILi1EEENS1_27BinaryOpScalarTensorFunctorIlLi1ELi1ELi0EEEJSt4plusIlEPllEEEvT_T0_DpT1_.uses_flat_scratch, 0
	.set _ZN2at6native12_GLOBAL__N_125multi_tensor_apply_kernelINS1_18TensorListMetadataILi1EEENS1_27BinaryOpScalarTensorFunctorIlLi1ELi1ELi0EEEJSt4plusIlEPllEEEvT_T0_DpT1_.has_dyn_sized_stack, 0
	.set _ZN2at6native12_GLOBAL__N_125multi_tensor_apply_kernelINS1_18TensorListMetadataILi1EEENS1_27BinaryOpScalarTensorFunctorIlLi1ELi1ELi0EEEJSt4plusIlEPllEEEvT_T0_DpT1_.has_recursion, 0
	.set _ZN2at6native12_GLOBAL__N_125multi_tensor_apply_kernelINS1_18TensorListMetadataILi1EEENS1_27BinaryOpScalarTensorFunctorIlLi1ELi1ELi0EEEJSt4plusIlEPllEEEvT_T0_DpT1_.has_indirect_call, 0
	.section	.AMDGPU.csdata,"",@progbits
; Kernel info:
; codeLenInByte = 1516
; TotalNumSgprs: 31
; NumVgprs: 24
; ScratchSize: 0
; MemoryBound: 0
; FloatMode: 240
; IeeeMode: 1
; LDSByteSize: 0 bytes/workgroup (compile time only)
; SGPRBlocks: 0
; VGPRBlocks: 2
; NumSGPRsForWavesPerEU: 31
; NumVGPRsForWavesPerEU: 24
; Occupancy: 16
; WaveLimiterHint : 0
; COMPUTE_PGM_RSRC2:SCRATCH_EN: 0
; COMPUTE_PGM_RSRC2:USER_SGPR: 2
; COMPUTE_PGM_RSRC2:TRAP_HANDLER: 0
; COMPUTE_PGM_RSRC2:TGID_X_EN: 1
; COMPUTE_PGM_RSRC2:TGID_Y_EN: 0
; COMPUTE_PGM_RSRC2:TGID_Z_EN: 0
; COMPUTE_PGM_RSRC2:TIDIG_COMP_CNT: 0
	.section	.text._ZN2at6native12_GLOBAL__N_125multi_tensor_apply_kernelINS1_18TensorListMetadataILi1EEENS1_27BinaryOpScalarTensorFunctorIsLi1ELi1ELi0EEEJSt4plusIsEPssEEEvT_T0_DpT1_,"axG",@progbits,_ZN2at6native12_GLOBAL__N_125multi_tensor_apply_kernelINS1_18TensorListMetadataILi1EEENS1_27BinaryOpScalarTensorFunctorIsLi1ELi1ELi0EEEJSt4plusIsEPssEEEvT_T0_DpT1_,comdat
	.globl	_ZN2at6native12_GLOBAL__N_125multi_tensor_apply_kernelINS1_18TensorListMetadataILi1EEENS1_27BinaryOpScalarTensorFunctorIsLi1ELi1ELi0EEEJSt4plusIsEPssEEEvT_T0_DpT1_ ; -- Begin function _ZN2at6native12_GLOBAL__N_125multi_tensor_apply_kernelINS1_18TensorListMetadataILi1EEENS1_27BinaryOpScalarTensorFunctorIsLi1ELi1ELi0EEEJSt4plusIsEPssEEEvT_T0_DpT1_
	.p2align	8
	.type	_ZN2at6native12_GLOBAL__N_125multi_tensor_apply_kernelINS1_18TensorListMetadataILi1EEENS1_27BinaryOpScalarTensorFunctorIsLi1ELi1ELi0EEEJSt4plusIsEPssEEEvT_T0_DpT1_,@function
_ZN2at6native12_GLOBAL__N_125multi_tensor_apply_kernelINS1_18TensorListMetadataILi1EEENS1_27BinaryOpScalarTensorFunctorIsLi1ELi1ELi0EEEJSt4plusIsEPssEEEvT_T0_DpT1_: ; @_ZN2at6native12_GLOBAL__N_125multi_tensor_apply_kernelINS1_18TensorListMetadataILi1EEENS1_27BinaryOpScalarTensorFunctorIsLi1ELi1ELi0EEEJSt4plusIsEPssEEEvT_T0_DpT1_
; %bb.0:
	s_mov_b32 s2, ttmp9
	s_mov_b32 s3, 0
	s_delay_alu instid0(SALU_CYCLE_1)
	s_mul_u64 s[4:5], s[2:3], 3
	s_add_nc_u64 s[6:7], s[0:1], s[2:3]
	s_mov_b32 s17, s3
	s_add_nc_u64 s[4:5], s[6:7], s[4:5]
	s_clause 0x1
	s_load_b32 s4, s[4:5], 0x820
	s_load_u8 s2, s[0:1], ttmp9 offset:0x6e0
	s_wait_kmcnt 0x0
	s_ashr_i32 s5, s4, 31
	s_lshl_b32 s2, s2, 3
	s_clause 0x2
	s_load_b64 s[6:7], s[0:1], s2 offset:0x0
	s_load_b64 s[14:15], s[0:1], s2 offset:0x370
	s_load_b96 s[8:10], s[0:1], 0xd30
	s_lshl_b64 s[12:13], s[4:5], 17
	s_lshl_b64 s[4:5], s[4:5], 16
	s_wait_kmcnt 0x0
	s_and_b32 s2, s6, 7
	s_and_b32 s16, s14, 3
	s_sub_nc_u64 s[14:15], s[14:15], s[4:5]
	s_or_b64 s[2:3], s[2:3], s[16:17]
	s_delay_alu instid0(SALU_CYCLE_1)
	s_cmp_eq_u64 s[2:3], 0
	s_cbranch_scc1 .LBB4_21
; %bb.1:
	v_cmp_lt_i64_e64 s2, s[14:15], 1
	s_and_b32 vcc_lo, exec_lo, s2
	s_cbranch_vccnz .LBB4_20
; %bb.2:
	s_load_b32 s2, s[0:1], 0xd4c
	v_cmp_gt_i64_e64 s11, 0x10000, s[14:15]
	v_dual_mov_b32 v12, 0 :: v_dual_lshlrev_b32 v1, 1, v0
	s_add_nc_u64 s[4:5], s[6:7], s[12:13]
	v_cmp_gt_u64_e64 s18, 0x10000, s[14:15]
	v_mov_b32_e32 v5, 0
	s_delay_alu instid0(VALU_DEP_3)
	v_add_co_u32 v1, s16, s4, v1
	s_and_b32 s11, s11, exec_lo
	v_add_co_ci_u32_e64 v2, null, s5, 0, s16
	s_cselect_b32 s17, s15, 0
	s_cselect_b32 s16, s14, 0x10000
	v_mov_b32_e32 v13, 0
	s_mov_b32 s3, 0
	s_wait_kmcnt 0x0
	s_and_b32 s2, s2, 0xffff
	s_and_b32 s11, s18, exec_lo
	v_add_co_u32 v6, s24, v0, s2
	s_cselect_b32 s19, s15, 0
	s_cselect_b32 s18, s14, 0x10000
	s_lshl_b32 s11, s2, 1
	v_lshlrev_b32_e32 v3, 1, v6
	s_mul_i32 s21, s2, 3
	v_add_co_u32 v10, s11, s11, v0
	v_add_co_u32 v7, s21, s21, v0
	s_delay_alu instid0(VALU_DEP_3)
	v_add_co_u32 v3, s4, s4, v3
	s_wait_alu 0xf1ff
	v_add_co_ci_u32_e64 v8, null, 0, 0, s21
	v_add_co_ci_u32_e64 v9, null, 0, 0, s24
	;; [unrolled: 1-line block ×4, first 2 shown]
	s_lshl_b32 s20, s2, 2
	s_mul_u64 s[22:23], s[2:3], 6
	s_mov_b32 s21, s3
	s_lshl_b32 s11, s2, 3
	s_mov_b64 s[24:25], 0
	s_branch .LBB4_4
.LBB4_3:                                ;   in Loop: Header=BB4_4 Depth=1
	s_wait_alu 0xfffe
	s_or_b32 exec_lo, exec_lo, s2
	s_add_nc_u64 s[24:25], s[24:25], s[20:21]
	v_add_co_u32 v1, vcc_lo, v1, s11
	s_wait_alu 0xfffe
	v_cmp_lt_i64_e64 s2, s[24:25], s[16:17]
	s_wait_alu 0xfffd
	v_add_co_ci_u32_e64 v2, null, 0, v2, vcc_lo
	v_add_co_u32 v3, vcc_lo, v3, s11
	s_wait_alu 0xfffd
	v_add_co_ci_u32_e64 v4, null, 0, v4, vcc_lo
	s_and_b32 vcc_lo, exec_lo, s2
	s_wait_alu 0xfffe
	s_cbranch_vccz .LBB4_20
.LBB4_4:                                ; =>This Inner Loop Header: Depth=1
	s_wait_alu 0xfffe
	v_add_co_u32 v14, s2, v0, s24
	s_wait_alu 0xf1ff
	v_add_co_ci_u32_e64 v15, null, 0, s25, s2
	v_and_b32_e32 v13, 0xffff0000, v13
	s_delay_alu instid0(VALU_DEP_2)
	v_cmp_gt_u64_e32 vcc_lo, s[18:19], v[14:15]
	s_and_saveexec_b32 s2, vcc_lo
	s_cbranch_execz .LBB4_6
; %bb.5:                                ;   in Loop: Header=BB4_4 Depth=1
	global_load_d16_b16 v13, v[1:2], off
.LBB4_6:                                ;   in Loop: Header=BB4_4 Depth=1
	s_wait_alu 0xfffe
	s_or_b32 exec_lo, exec_lo, s2
	v_add_co_u32 v14, s2, v6, s24
	s_wait_alu 0xf1ff
	v_add_co_ci_u32_e64 v15, null, s25, v9, s2
	s_wait_loadcnt 0x0
	v_and_b32_e32 v13, 0xffff, v13
	s_delay_alu instid0(VALU_DEP_2)
	v_cmp_gt_u64_e64 s2, s[18:19], v[14:15]
	s_and_saveexec_b32 s3, s2
	s_cbranch_execz .LBB4_8
; %bb.7:                                ;   in Loop: Header=BB4_4 Depth=1
	global_load_d16_hi_b16 v13, v[3:4], off
.LBB4_8:                                ;   in Loop: Header=BB4_4 Depth=1
	s_wait_alu 0xfffe
	s_or_b32 exec_lo, exec_lo, s3
	v_add_co_u32 v14, s3, v10, s24
	s_wait_alu 0xf1ff
	v_add_co_ci_u32_e64 v15, null, s25, v11, s3
	v_and_b32_e32 v12, 0xffff0000, v12
	s_delay_alu instid0(VALU_DEP_2)
	v_cmp_gt_u64_e64 s3, s[18:19], v[14:15]
	s_and_saveexec_b32 s5, s3
	s_cbranch_execz .LBB4_10
; %bb.9:                                ;   in Loop: Header=BB4_4 Depth=1
	v_add_co_u32 v14, s4, v1, s20
	s_wait_alu 0xf1ff
	v_add_co_ci_u32_e64 v15, null, 0, v2, s4
	global_load_d16_b16 v12, v[14:15], off
.LBB4_10:                               ;   in Loop: Header=BB4_4 Depth=1
	s_wait_alu 0xfffe
	s_or_b32 exec_lo, exec_lo, s5
	v_add_co_u32 v14, s4, v7, s24
	s_wait_alu 0xf1ff
	v_add_co_ci_u32_e64 v15, null, s25, v8, s4
	s_wait_loadcnt 0x0
	v_and_b32_e32 v12, 0xffff, v12
	s_delay_alu instid0(VALU_DEP_2)
	v_cmp_gt_u64_e64 s4, s[18:19], v[14:15]
	s_and_saveexec_b32 s26, s4
	s_cbranch_execz .LBB4_12
; %bb.11:                               ;   in Loop: Header=BB4_4 Depth=1
	v_add_co_u32 v14, s5, v1, s22
	s_wait_alu 0xf1ff
	v_add_co_ci_u32_e64 v15, null, s23, v2, s5
	global_load_d16_hi_b16 v12, v[14:15], off
.LBB4_12:                               ;   in Loop: Header=BB4_4 Depth=1
	s_or_b32 exec_lo, exec_lo, s26
	global_load_u16 v14, v5, s[8:9]
	s_wait_loadcnt 0x0
	v_mul_lo_u32 v14, v14, s10
	s_delay_alu instid0(VALU_DEP_1)
	v_pk_add_u16 v13, v14, v13 op_sel_hi:[0,1]
	s_and_saveexec_b32 s5, vcc_lo
	s_cbranch_execnz .LBB4_16
; %bb.13:                               ;   in Loop: Header=BB4_4 Depth=1
	s_wait_alu 0xfffe
	s_or_b32 exec_lo, exec_lo, s5
	s_and_saveexec_b32 s5, s2
	s_cbranch_execnz .LBB4_17
.LBB4_14:                               ;   in Loop: Header=BB4_4 Depth=1
	s_wait_alu 0xfffe
	s_or_b32 exec_lo, exec_lo, s5
	v_pk_add_u16 v12, v14, v12 op_sel_hi:[0,1]
	s_and_saveexec_b32 s2, s3
	s_cbranch_execnz .LBB4_18
.LBB4_15:                               ;   in Loop: Header=BB4_4 Depth=1
	s_wait_alu 0xfffe
	s_or_b32 exec_lo, exec_lo, s2
	s_and_saveexec_b32 s2, s4
	s_cbranch_execz .LBB4_3
	s_branch .LBB4_19
.LBB4_16:                               ;   in Loop: Header=BB4_4 Depth=1
	global_store_b16 v[1:2], v13, off
	s_wait_alu 0xfffe
	s_or_b32 exec_lo, exec_lo, s5
	s_and_saveexec_b32 s5, s2
	s_cbranch_execz .LBB4_14
.LBB4_17:                               ;   in Loop: Header=BB4_4 Depth=1
	global_store_d16_hi_b16 v[3:4], v13, off
	s_wait_alu 0xfffe
	s_or_b32 exec_lo, exec_lo, s5
	v_pk_add_u16 v12, v14, v12 op_sel_hi:[0,1]
	s_and_saveexec_b32 s2, s3
	s_cbranch_execz .LBB4_15
.LBB4_18:                               ;   in Loop: Header=BB4_4 Depth=1
	v_add_co_u32 v14, vcc_lo, v1, s20
	s_wait_alu 0xfffd
	v_add_co_ci_u32_e64 v15, null, 0, v2, vcc_lo
	global_store_b16 v[14:15], v12, off
	s_wait_alu 0xfffe
	s_or_b32 exec_lo, exec_lo, s2
	s_and_saveexec_b32 s2, s4
	s_cbranch_execz .LBB4_3
.LBB4_19:                               ;   in Loop: Header=BB4_4 Depth=1
	v_add_co_u32 v14, vcc_lo, v1, s22
	s_wait_alu 0xfffd
	v_add_co_ci_u32_e64 v15, null, s23, v2, vcc_lo
	global_store_d16_hi_b16 v[14:15], v12, off
	s_branch .LBB4_3
.LBB4_20:
	s_cbranch_execz .LBB4_22
	s_branch .LBB4_25
.LBB4_21:
.LBB4_22:
	v_cmp_gt_i64_e64 s2, 0x10000, s[14:15]
	v_dual_mov_b32 v2, 0 :: v_dual_lshlrev_b32 v1, 2, v0
	s_mov_b32 s4, 0
	s_mov_b32 s5, exec_lo
	s_and_b32 s2, s2, exec_lo
	s_cselect_b32 s3, s15, 0
	s_cselect_b32 s2, s14, 0x10000
	s_wait_alu 0xfffe
	v_cmpx_gt_i64_e64 s[2:3], v[1:2]
	s_cbranch_execz .LBB4_25
; %bb.23:
	s_load_b32 s5, s[0:1], 0xd4c
	v_lshlrev_b32_e32 v3, 3, v0
	s_add_nc_u64 s[0:1], s[6:7], s[12:13]
	v_mov_b32_e32 v1, v2
	s_delay_alu instid0(VALU_DEP_2)
	v_add_co_u32 v3, s0, s0, v3
	s_wait_alu 0xf1ff
	v_add_co_ci_u32_e64 v4, null, s1, 0, s0
	s_wait_kmcnt 0x0
	s_and_b32 s1, s5, 0xffff
	s_wait_alu 0xfffe
	s_lshl_b32 s5, s1, 3
.LBB4_24:                               ; =>This Inner Loop Header: Depth=1
	global_load_u16 v7, v2, s[8:9]
	global_load_b64 v[5:6], v[3:4], off
	v_add_co_u32 v0, vcc_lo, v0, s1
	s_wait_alu 0xfffd
	v_add_co_ci_u32_e64 v1, null, 0, v1, vcc_lo
	s_wait_loadcnt 0x1
	v_mul_lo_u32 v9, v7, s10
	s_delay_alu instid0(VALU_DEP_2) | instskip(NEXT) | instid1(VALU_DEP_1)
	v_lshlrev_b64_e32 v[7:8], 2, v[0:1]
	v_cmp_le_i64_e32 vcc_lo, s[2:3], v[7:8]
	s_wait_loadcnt 0x0
	s_delay_alu instid0(VALU_DEP_3)
	v_pk_add_u16 v6, v9, v6 op_sel_hi:[0,1]
	v_pk_add_u16 v5, v9, v5 op_sel_hi:[0,1]
	s_or_b32 s4, vcc_lo, s4
	global_store_b64 v[3:4], v[5:6], off
	s_wait_alu 0xfffe
	v_add_co_u32 v3, s0, v3, s5
	s_wait_alu 0xf1ff
	v_add_co_ci_u32_e64 v4, null, 0, v4, s0
	s_and_not1_b32 exec_lo, exec_lo, s4
	s_cbranch_execnz .LBB4_24
.LBB4_25:
	s_endpgm
	.section	.rodata,"a",@progbits
	.p2align	6, 0x0
	.amdhsa_kernel _ZN2at6native12_GLOBAL__N_125multi_tensor_apply_kernelINS1_18TensorListMetadataILi1EEENS1_27BinaryOpScalarTensorFunctorIsLi1ELi1ELi0EEEJSt4plusIsEPssEEEvT_T0_DpT1_
		.amdhsa_group_segment_fixed_size 0
		.amdhsa_private_segment_fixed_size 0
		.amdhsa_kernarg_size 3648
		.amdhsa_user_sgpr_count 2
		.amdhsa_user_sgpr_dispatch_ptr 0
		.amdhsa_user_sgpr_queue_ptr 0
		.amdhsa_user_sgpr_kernarg_segment_ptr 1
		.amdhsa_user_sgpr_dispatch_id 0
		.amdhsa_user_sgpr_private_segment_size 0
		.amdhsa_wavefront_size32 1
		.amdhsa_uses_dynamic_stack 0
		.amdhsa_enable_private_segment 0
		.amdhsa_system_sgpr_workgroup_id_x 1
		.amdhsa_system_sgpr_workgroup_id_y 0
		.amdhsa_system_sgpr_workgroup_id_z 0
		.amdhsa_system_sgpr_workgroup_info 0
		.amdhsa_system_vgpr_workitem_id 0
		.amdhsa_next_free_vgpr 16
		.amdhsa_next_free_sgpr 27
		.amdhsa_reserve_vcc 1
		.amdhsa_float_round_mode_32 0
		.amdhsa_float_round_mode_16_64 0
		.amdhsa_float_denorm_mode_32 3
		.amdhsa_float_denorm_mode_16_64 3
		.amdhsa_fp16_overflow 0
		.amdhsa_workgroup_processor_mode 1
		.amdhsa_memory_ordered 1
		.amdhsa_forward_progress 1
		.amdhsa_inst_pref_size 11
		.amdhsa_round_robin_scheduling 0
		.amdhsa_exception_fp_ieee_invalid_op 0
		.amdhsa_exception_fp_denorm_src 0
		.amdhsa_exception_fp_ieee_div_zero 0
		.amdhsa_exception_fp_ieee_overflow 0
		.amdhsa_exception_fp_ieee_underflow 0
		.amdhsa_exception_fp_ieee_inexact 0
		.amdhsa_exception_int_div_zero 0
	.end_amdhsa_kernel
	.section	.text._ZN2at6native12_GLOBAL__N_125multi_tensor_apply_kernelINS1_18TensorListMetadataILi1EEENS1_27BinaryOpScalarTensorFunctorIsLi1ELi1ELi0EEEJSt4plusIsEPssEEEvT_T0_DpT1_,"axG",@progbits,_ZN2at6native12_GLOBAL__N_125multi_tensor_apply_kernelINS1_18TensorListMetadataILi1EEENS1_27BinaryOpScalarTensorFunctorIsLi1ELi1ELi0EEEJSt4plusIsEPssEEEvT_T0_DpT1_,comdat
.Lfunc_end4:
	.size	_ZN2at6native12_GLOBAL__N_125multi_tensor_apply_kernelINS1_18TensorListMetadataILi1EEENS1_27BinaryOpScalarTensorFunctorIsLi1ELi1ELi0EEEJSt4plusIsEPssEEEvT_T0_DpT1_, .Lfunc_end4-_ZN2at6native12_GLOBAL__N_125multi_tensor_apply_kernelINS1_18TensorListMetadataILi1EEENS1_27BinaryOpScalarTensorFunctorIsLi1ELi1ELi0EEEJSt4plusIsEPssEEEvT_T0_DpT1_
                                        ; -- End function
	.set _ZN2at6native12_GLOBAL__N_125multi_tensor_apply_kernelINS1_18TensorListMetadataILi1EEENS1_27BinaryOpScalarTensorFunctorIsLi1ELi1ELi0EEEJSt4plusIsEPssEEEvT_T0_DpT1_.num_vgpr, 16
	.set _ZN2at6native12_GLOBAL__N_125multi_tensor_apply_kernelINS1_18TensorListMetadataILi1EEENS1_27BinaryOpScalarTensorFunctorIsLi1ELi1ELi0EEEJSt4plusIsEPssEEEvT_T0_DpT1_.num_agpr, 0
	.set _ZN2at6native12_GLOBAL__N_125multi_tensor_apply_kernelINS1_18TensorListMetadataILi1EEENS1_27BinaryOpScalarTensorFunctorIsLi1ELi1ELi0EEEJSt4plusIsEPssEEEvT_T0_DpT1_.numbered_sgpr, 27
	.set _ZN2at6native12_GLOBAL__N_125multi_tensor_apply_kernelINS1_18TensorListMetadataILi1EEENS1_27BinaryOpScalarTensorFunctorIsLi1ELi1ELi0EEEJSt4plusIsEPssEEEvT_T0_DpT1_.num_named_barrier, 0
	.set _ZN2at6native12_GLOBAL__N_125multi_tensor_apply_kernelINS1_18TensorListMetadataILi1EEENS1_27BinaryOpScalarTensorFunctorIsLi1ELi1ELi0EEEJSt4plusIsEPssEEEvT_T0_DpT1_.private_seg_size, 0
	.set _ZN2at6native12_GLOBAL__N_125multi_tensor_apply_kernelINS1_18TensorListMetadataILi1EEENS1_27BinaryOpScalarTensorFunctorIsLi1ELi1ELi0EEEJSt4plusIsEPssEEEvT_T0_DpT1_.uses_vcc, 1
	.set _ZN2at6native12_GLOBAL__N_125multi_tensor_apply_kernelINS1_18TensorListMetadataILi1EEENS1_27BinaryOpScalarTensorFunctorIsLi1ELi1ELi0EEEJSt4plusIsEPssEEEvT_T0_DpT1_.uses_flat_scratch, 0
	.set _ZN2at6native12_GLOBAL__N_125multi_tensor_apply_kernelINS1_18TensorListMetadataILi1EEENS1_27BinaryOpScalarTensorFunctorIsLi1ELi1ELi0EEEJSt4plusIsEPssEEEvT_T0_DpT1_.has_dyn_sized_stack, 0
	.set _ZN2at6native12_GLOBAL__N_125multi_tensor_apply_kernelINS1_18TensorListMetadataILi1EEENS1_27BinaryOpScalarTensorFunctorIsLi1ELi1ELi0EEEJSt4plusIsEPssEEEvT_T0_DpT1_.has_recursion, 0
	.set _ZN2at6native12_GLOBAL__N_125multi_tensor_apply_kernelINS1_18TensorListMetadataILi1EEENS1_27BinaryOpScalarTensorFunctorIsLi1ELi1ELi0EEEJSt4plusIsEPssEEEvT_T0_DpT1_.has_indirect_call, 0
	.section	.AMDGPU.csdata,"",@progbits
; Kernel info:
; codeLenInByte = 1292
; TotalNumSgprs: 29
; NumVgprs: 16
; ScratchSize: 0
; MemoryBound: 0
; FloatMode: 240
; IeeeMode: 1
; LDSByteSize: 0 bytes/workgroup (compile time only)
; SGPRBlocks: 0
; VGPRBlocks: 1
; NumSGPRsForWavesPerEU: 29
; NumVGPRsForWavesPerEU: 16
; Occupancy: 16
; WaveLimiterHint : 0
; COMPUTE_PGM_RSRC2:SCRATCH_EN: 0
; COMPUTE_PGM_RSRC2:USER_SGPR: 2
; COMPUTE_PGM_RSRC2:TRAP_HANDLER: 0
; COMPUTE_PGM_RSRC2:TGID_X_EN: 1
; COMPUTE_PGM_RSRC2:TGID_Y_EN: 0
; COMPUTE_PGM_RSRC2:TGID_Z_EN: 0
; COMPUTE_PGM_RSRC2:TIDIG_COMP_CNT: 0
	.section	.text._ZN2at6native12_GLOBAL__N_125multi_tensor_apply_kernelINS1_18TensorListMetadataILi1EEENS1_27BinaryOpScalarTensorFunctorIdLi1ELi1ELi0EEEJSt4plusIdEPddEEEvT_T0_DpT1_,"axG",@progbits,_ZN2at6native12_GLOBAL__N_125multi_tensor_apply_kernelINS1_18TensorListMetadataILi1EEENS1_27BinaryOpScalarTensorFunctorIdLi1ELi1ELi0EEEJSt4plusIdEPddEEEvT_T0_DpT1_,comdat
	.globl	_ZN2at6native12_GLOBAL__N_125multi_tensor_apply_kernelINS1_18TensorListMetadataILi1EEENS1_27BinaryOpScalarTensorFunctorIdLi1ELi1ELi0EEEJSt4plusIdEPddEEEvT_T0_DpT1_ ; -- Begin function _ZN2at6native12_GLOBAL__N_125multi_tensor_apply_kernelINS1_18TensorListMetadataILi1EEENS1_27BinaryOpScalarTensorFunctorIdLi1ELi1ELi0EEEJSt4plusIdEPddEEEvT_T0_DpT1_
	.p2align	8
	.type	_ZN2at6native12_GLOBAL__N_125multi_tensor_apply_kernelINS1_18TensorListMetadataILi1EEENS1_27BinaryOpScalarTensorFunctorIdLi1ELi1ELi0EEEJSt4plusIdEPddEEEvT_T0_DpT1_,@function
_ZN2at6native12_GLOBAL__N_125multi_tensor_apply_kernelINS1_18TensorListMetadataILi1EEENS1_27BinaryOpScalarTensorFunctorIdLi1ELi1ELi0EEEJSt4plusIdEPddEEEvT_T0_DpT1_: ; @_ZN2at6native12_GLOBAL__N_125multi_tensor_apply_kernelINS1_18TensorListMetadataILi1EEENS1_27BinaryOpScalarTensorFunctorIdLi1ELi1ELi0EEEJSt4plusIdEPddEEEvT_T0_DpT1_
; %bb.0:
	s_mov_b32 s2, ttmp9
	s_mov_b32 s3, 0
	s_delay_alu instid0(SALU_CYCLE_1)
	s_mul_u64 s[4:5], s[2:3], 3
	s_add_nc_u64 s[6:7], s[0:1], s[2:3]
	s_mov_b32 s17, s3
	s_add_nc_u64 s[4:5], s[6:7], s[4:5]
	s_clause 0x1
	s_load_b32 s4, s[4:5], 0x820
	s_load_u8 s2, s[0:1], ttmp9 offset:0x6e0
	s_wait_kmcnt 0x0
	s_ashr_i32 s5, s4, 31
	s_lshl_b32 s2, s2, 3
	s_clause 0x2
	s_load_b64 s[6:7], s[0:1], s2 offset:0x0
	s_load_b64 s[14:15], s[0:1], s2 offset:0x370
	s_load_b128 s[8:11], s[0:1], 0xd30
	s_lshl_b64 s[12:13], s[4:5], 19
	s_lshl_b64 s[4:5], s[4:5], 16
	s_wait_kmcnt 0x0
	s_and_b32 s2, s6, 31
	s_and_b32 s16, s14, 3
	s_sub_nc_u64 s[14:15], s[14:15], s[4:5]
	s_or_b64 s[2:3], s[2:3], s[16:17]
	s_delay_alu instid0(SALU_CYCLE_1)
	s_cmp_eq_u64 s[2:3], 0
	s_cbranch_scc1 .LBB5_21
; %bb.1:
	v_cmp_lt_i64_e64 s2, s[14:15], 1
	s_and_b32 vcc_lo, exec_lo, s2
	s_cbranch_vccnz .LBB5_20
; %bb.2:
	s_load_b32 s2, s[0:1], 0xd4c
	v_cmp_gt_i64_e64 s16, 0x10000, s[14:15]
	v_lshlrev_b32_e32 v1, 3, v0
	s_add_nc_u64 s[4:5], s[6:7], s[12:13]
	s_mov_b32 s3, 0
	v_cmp_gt_u64_e64 s20, 0x10000, s[14:15]
	s_mov_b32 s17, s3
	v_add_co_u32 v1, s18, s4, v1
	s_and_b32 s16, s16, exec_lo
	v_add_co_ci_u32_e64 v2, null, s5, 0, s18
	s_cselect_b32 s19, s15, 0
	s_cselect_b32 s18, s14, 0x10000
	v_mov_b32_e32 v15, 0
	s_wait_kmcnt 0x0
	s_and_b32 s2, s2, 0xffff
	s_and_b32 s16, s20, exec_lo
	s_mul_u64 s[22:23], s[2:3], 24
	v_add_co_u32 v16, s3, v0, s2
	s_cselect_b32 s21, s15, 0
	s_cselect_b32 s20, s14, 0x10000
	s_lshl_b32 s24, s2, 1
	v_lshlrev_b32_e32 v3, 3, v16
	s_mul_i32 s25, s2, 3
	v_add_co_ci_u32_e64 v19, null, 0, 0, s3
	v_add_co_u32 v20, s3, s24, v0
	v_add_co_u32 v17, s25, s25, v0
	s_wait_alu 0xf1ff
	v_add_co_ci_u32_e64 v21, null, 0, 0, s3
	v_add_co_u32 v3, s3, s4, v3
	v_add_co_ci_u32_e64 v18, null, 0, 0, s25
	s_wait_alu 0xf1ff
	v_add_co_ci_u32_e64 v4, null, s5, 0, s3
	s_lshl_b32 s16, s2, 2
	s_lshl_b32 s26, s2, 5
	;; [unrolled: 1-line block ×3, first 2 shown]
	s_mov_b64 s[24:25], 0
	s_branch .LBB5_4
.LBB5_3:                                ;   in Loop: Header=BB5_4 Depth=1
	s_wait_alu 0xfffe
	s_or_b32 exec_lo, exec_lo, s2
	s_add_nc_u64 s[24:25], s[24:25], s[16:17]
	v_add_co_u32 v1, vcc_lo, v1, s26
	s_wait_alu 0xfffe
	v_cmp_lt_i64_e64 s2, s[24:25], s[18:19]
	s_wait_alu 0xfffd
	v_add_co_ci_u32_e64 v2, null, 0, v2, vcc_lo
	v_add_co_u32 v3, vcc_lo, v3, s26
	s_wait_alu 0xfffd
	v_add_co_ci_u32_e64 v4, null, 0, v4, vcc_lo
	s_and_b32 vcc_lo, exec_lo, s2
	s_wait_alu 0xfffe
	s_cbranch_vccz .LBB5_20
.LBB5_4:                                ; =>This Inner Loop Header: Depth=1
	s_wait_alu 0xfffe
	v_add_co_u32 v7, s2, v0, s24
	s_wait_alu 0xf1ff
	v_add_co_ci_u32_e64 v8, null, 0, s25, s2
	v_mov_b32_e32 v5, 0
	v_mov_b32_e32 v6, 0
	s_delay_alu instid0(VALU_DEP_3)
	v_cmp_gt_u64_e32 vcc_lo, s[20:21], v[7:8]
	v_mov_b32_e32 v7, 0
	v_mov_b32_e32 v8, 0
	s_and_saveexec_b32 s2, vcc_lo
	s_cbranch_execz .LBB5_6
; %bb.5:                                ;   in Loop: Header=BB5_4 Depth=1
	global_load_b64 v[7:8], v[1:2], off
.LBB5_6:                                ;   in Loop: Header=BB5_4 Depth=1
	s_wait_alu 0xfffe
	s_or_b32 exec_lo, exec_lo, s2
	v_add_co_u32 v9, s2, v16, s24
	s_wait_alu 0xf1ff
	v_add_co_ci_u32_e64 v10, null, s25, v19, s2
	s_delay_alu instid0(VALU_DEP_1)
	v_cmp_gt_u64_e64 s2, s[20:21], v[9:10]
	s_and_saveexec_b32 s3, s2
	s_cbranch_execz .LBB5_8
; %bb.7:                                ;   in Loop: Header=BB5_4 Depth=1
	global_load_b64 v[5:6], v[3:4], off
.LBB5_8:                                ;   in Loop: Header=BB5_4 Depth=1
	s_wait_alu 0xfffe
	s_or_b32 exec_lo, exec_lo, s3
	v_add_co_u32 v11, s3, v20, s24
	s_wait_alu 0xf1ff
	v_add_co_ci_u32_e64 v12, null, s25, v21, s3
	v_mov_b32_e32 v9, 0
	v_mov_b32_e32 v10, 0
	s_delay_alu instid0(VALU_DEP_3)
	v_cmp_gt_u64_e64 s3, s[20:21], v[11:12]
	v_mov_b32_e32 v11, 0
	v_mov_b32_e32 v12, 0
	s_and_saveexec_b32 s5, s3
	s_cbranch_execz .LBB5_10
; %bb.9:                                ;   in Loop: Header=BB5_4 Depth=1
	v_add_co_u32 v11, s4, v1, s27
	s_wait_alu 0xf1ff
	v_add_co_ci_u32_e64 v12, null, 0, v2, s4
	global_load_b64 v[11:12], v[11:12], off
.LBB5_10:                               ;   in Loop: Header=BB5_4 Depth=1
	s_wait_alu 0xfffe
	s_or_b32 exec_lo, exec_lo, s5
	v_add_co_u32 v13, s4, v17, s24
	s_wait_alu 0xf1ff
	v_add_co_ci_u32_e64 v14, null, s25, v18, s4
	s_delay_alu instid0(VALU_DEP_1)
	v_cmp_gt_u64_e64 s4, s[20:21], v[13:14]
	s_and_saveexec_b32 s28, s4
	s_cbranch_execz .LBB5_12
; %bb.11:                               ;   in Loop: Header=BB5_4 Depth=1
	v_add_co_u32 v9, s5, v1, s22
	s_wait_alu 0xf1ff
	v_add_co_ci_u32_e64 v10, null, s23, v2, s5
	global_load_b64 v[9:10], v[9:10], off
.LBB5_12:                               ;   in Loop: Header=BB5_4 Depth=1
	s_or_b32 exec_lo, exec_lo, s28
	global_load_b64 v[13:14], v15, s[8:9]
	s_wait_loadcnt 0x0
	v_mul_f64_e32 v[13:14], s[10:11], v[13:14]
	s_and_saveexec_b32 s5, vcc_lo
	s_cbranch_execnz .LBB5_16
; %bb.13:                               ;   in Loop: Header=BB5_4 Depth=1
	s_wait_alu 0xfffe
	s_or_b32 exec_lo, exec_lo, s5
	s_and_saveexec_b32 s5, s2
	s_cbranch_execnz .LBB5_17
.LBB5_14:                               ;   in Loop: Header=BB5_4 Depth=1
	s_wait_alu 0xfffe
	s_or_b32 exec_lo, exec_lo, s5
	s_and_saveexec_b32 s2, s3
	s_cbranch_execnz .LBB5_18
.LBB5_15:                               ;   in Loop: Header=BB5_4 Depth=1
	s_wait_alu 0xfffe
	s_or_b32 exec_lo, exec_lo, s2
	s_and_saveexec_b32 s2, s4
	s_cbranch_execz .LBB5_3
	s_branch .LBB5_19
.LBB5_16:                               ;   in Loop: Header=BB5_4 Depth=1
	s_delay_alu instid0(VALU_DEP_1)
	v_add_f64_e32 v[7:8], v[7:8], v[13:14]
	global_store_b64 v[1:2], v[7:8], off
	s_wait_alu 0xfffe
	s_or_b32 exec_lo, exec_lo, s5
	s_and_saveexec_b32 s5, s2
	s_cbranch_execz .LBB5_14
.LBB5_17:                               ;   in Loop: Header=BB5_4 Depth=1
	s_delay_alu instid0(VALU_DEP_1)
	v_add_f64_e32 v[5:6], v[5:6], v[13:14]
	global_store_b64 v[3:4], v[5:6], off
	s_wait_alu 0xfffe
	s_or_b32 exec_lo, exec_lo, s5
	s_and_saveexec_b32 s2, s3
	s_cbranch_execz .LBB5_15
.LBB5_18:                               ;   in Loop: Header=BB5_4 Depth=1
	s_delay_alu instid0(VALU_DEP_1)
	v_add_f64_e32 v[5:6], v[11:12], v[13:14]
	v_add_co_u32 v7, vcc_lo, v1, s27
	s_wait_alu 0xfffd
	v_add_co_ci_u32_e64 v8, null, 0, v2, vcc_lo
	global_store_b64 v[7:8], v[5:6], off
	s_wait_alu 0xfffe
	s_or_b32 exec_lo, exec_lo, s2
	s_and_saveexec_b32 s2, s4
	s_cbranch_execz .LBB5_3
.LBB5_19:                               ;   in Loop: Header=BB5_4 Depth=1
	s_delay_alu instid0(VALU_DEP_1)
	v_add_f64_e32 v[5:6], v[9:10], v[13:14]
	v_add_co_u32 v7, vcc_lo, v1, s22
	s_wait_alu 0xfffd
	v_add_co_ci_u32_e64 v8, null, s23, v2, vcc_lo
	global_store_b64 v[7:8], v[5:6], off
	s_branch .LBB5_3
.LBB5_20:
	s_cbranch_execz .LBB5_22
	s_branch .LBB5_25
.LBB5_21:
.LBB5_22:
	v_cmp_gt_i64_e64 s2, 0x10000, s[14:15]
	v_dual_mov_b32 v2, 0 :: v_dual_lshlrev_b32 v1, 2, v0
	s_mov_b32 s4, 0
	s_mov_b32 s5, exec_lo
	s_and_b32 s2, s2, exec_lo
	s_cselect_b32 s3, s15, 0
	s_cselect_b32 s2, s14, 0x10000
	s_wait_alu 0xfffe
	v_cmpx_gt_i64_e64 s[2:3], v[1:2]
	s_cbranch_execz .LBB5_25
; %bb.23:
	s_load_b32 s5, s[0:1], 0xd4c
	v_lshlrev_b32_e32 v1, 5, v0
	s_add_nc_u64 s[0:1], s[6:7], s[12:13]
	s_delay_alu instid0(VALU_DEP_1) | instid1(SALU_CYCLE_1)
	v_add_co_u32 v3, s0, s0, v1
	s_wait_alu 0xf1ff
	v_add_co_ci_u32_e64 v4, null, s1, 0, s0
	v_mov_b32_e32 v1, v2
	s_delay_alu instid0(VALU_DEP_3) | instskip(SKIP_1) | instid1(VALU_DEP_3)
	v_add_co_u32 v3, vcc_lo, v3, 16
	s_wait_alu 0xfffd
	v_add_co_ci_u32_e64 v4, null, 0, v4, vcc_lo
	s_wait_kmcnt 0x0
	s_and_b32 s1, s5, 0xffff
	s_wait_alu 0xfffe
	s_lshl_b32 s5, s1, 5
.LBB5_24:                               ; =>This Inner Loop Header: Depth=1
	global_load_b64 v[13:14], v2, s[8:9]
	s_clause 0x1
	global_load_b128 v[5:8], v[3:4], off offset:-16
	global_load_b128 v[9:12], v[3:4], off
	v_add_co_u32 v0, vcc_lo, v0, s1
	s_wait_alu 0xfffd
	v_add_co_ci_u32_e64 v1, null, 0, v1, vcc_lo
	s_wait_loadcnt 0x1
	v_fma_f64 v[5:6], s[10:11], v[13:14], v[5:6]
	v_fma_f64 v[7:8], s[10:11], v[13:14], v[7:8]
	s_wait_loadcnt 0x0
	v_fma_f64 v[9:10], s[10:11], v[13:14], v[9:10]
	v_fma_f64 v[11:12], s[10:11], v[13:14], v[11:12]
	v_lshlrev_b64_e32 v[13:14], 2, v[0:1]
	s_clause 0x1
	global_store_b128 v[3:4], v[5:8], off offset:-16
	global_store_b128 v[3:4], v[9:12], off
	v_cmp_le_i64_e32 vcc_lo, s[2:3], v[13:14]
	s_wait_alu 0xfffe
	v_add_co_u32 v3, s0, v3, s5
	s_wait_alu 0xf1ff
	v_add_co_ci_u32_e64 v4, null, 0, v4, s0
	s_or_b32 s4, vcc_lo, s4
	s_wait_alu 0xfffe
	s_and_not1_b32 exec_lo, exec_lo, s4
	s_cbranch_execnz .LBB5_24
.LBB5_25:
	s_endpgm
	.section	.rodata,"a",@progbits
	.p2align	6, 0x0
	.amdhsa_kernel _ZN2at6native12_GLOBAL__N_125multi_tensor_apply_kernelINS1_18TensorListMetadataILi1EEENS1_27BinaryOpScalarTensorFunctorIdLi1ELi1ELi0EEEJSt4plusIdEPddEEEvT_T0_DpT1_
		.amdhsa_group_segment_fixed_size 0
		.amdhsa_private_segment_fixed_size 0
		.amdhsa_kernarg_size 3648
		.amdhsa_user_sgpr_count 2
		.amdhsa_user_sgpr_dispatch_ptr 0
		.amdhsa_user_sgpr_queue_ptr 0
		.amdhsa_user_sgpr_kernarg_segment_ptr 1
		.amdhsa_user_sgpr_dispatch_id 0
		.amdhsa_user_sgpr_private_segment_size 0
		.amdhsa_wavefront_size32 1
		.amdhsa_uses_dynamic_stack 0
		.amdhsa_enable_private_segment 0
		.amdhsa_system_sgpr_workgroup_id_x 1
		.amdhsa_system_sgpr_workgroup_id_y 0
		.amdhsa_system_sgpr_workgroup_id_z 0
		.amdhsa_system_sgpr_workgroup_info 0
		.amdhsa_system_vgpr_workitem_id 0
		.amdhsa_next_free_vgpr 22
		.amdhsa_next_free_sgpr 29
		.amdhsa_reserve_vcc 1
		.amdhsa_float_round_mode_32 0
		.amdhsa_float_round_mode_16_64 0
		.amdhsa_float_denorm_mode_32 3
		.amdhsa_float_denorm_mode_16_64 3
		.amdhsa_fp16_overflow 0
		.amdhsa_workgroup_processor_mode 1
		.amdhsa_memory_ordered 1
		.amdhsa_forward_progress 1
		.amdhsa_inst_pref_size 11
		.amdhsa_round_robin_scheduling 0
		.amdhsa_exception_fp_ieee_invalid_op 0
		.amdhsa_exception_fp_denorm_src 0
		.amdhsa_exception_fp_ieee_div_zero 0
		.amdhsa_exception_fp_ieee_overflow 0
		.amdhsa_exception_fp_ieee_underflow 0
		.amdhsa_exception_fp_ieee_inexact 0
		.amdhsa_exception_int_div_zero 0
	.end_amdhsa_kernel
	.section	.text._ZN2at6native12_GLOBAL__N_125multi_tensor_apply_kernelINS1_18TensorListMetadataILi1EEENS1_27BinaryOpScalarTensorFunctorIdLi1ELi1ELi0EEEJSt4plusIdEPddEEEvT_T0_DpT1_,"axG",@progbits,_ZN2at6native12_GLOBAL__N_125multi_tensor_apply_kernelINS1_18TensorListMetadataILi1EEENS1_27BinaryOpScalarTensorFunctorIdLi1ELi1ELi0EEEJSt4plusIdEPddEEEvT_T0_DpT1_,comdat
.Lfunc_end5:
	.size	_ZN2at6native12_GLOBAL__N_125multi_tensor_apply_kernelINS1_18TensorListMetadataILi1EEENS1_27BinaryOpScalarTensorFunctorIdLi1ELi1ELi0EEEJSt4plusIdEPddEEEvT_T0_DpT1_, .Lfunc_end5-_ZN2at6native12_GLOBAL__N_125multi_tensor_apply_kernelINS1_18TensorListMetadataILi1EEENS1_27BinaryOpScalarTensorFunctorIdLi1ELi1ELi0EEEJSt4plusIdEPddEEEvT_T0_DpT1_
                                        ; -- End function
	.set _ZN2at6native12_GLOBAL__N_125multi_tensor_apply_kernelINS1_18TensorListMetadataILi1EEENS1_27BinaryOpScalarTensorFunctorIdLi1ELi1ELi0EEEJSt4plusIdEPddEEEvT_T0_DpT1_.num_vgpr, 22
	.set _ZN2at6native12_GLOBAL__N_125multi_tensor_apply_kernelINS1_18TensorListMetadataILi1EEENS1_27BinaryOpScalarTensorFunctorIdLi1ELi1ELi0EEEJSt4plusIdEPddEEEvT_T0_DpT1_.num_agpr, 0
	.set _ZN2at6native12_GLOBAL__N_125multi_tensor_apply_kernelINS1_18TensorListMetadataILi1EEENS1_27BinaryOpScalarTensorFunctorIdLi1ELi1ELi0EEEJSt4plusIdEPddEEEvT_T0_DpT1_.numbered_sgpr, 29
	.set _ZN2at6native12_GLOBAL__N_125multi_tensor_apply_kernelINS1_18TensorListMetadataILi1EEENS1_27BinaryOpScalarTensorFunctorIdLi1ELi1ELi0EEEJSt4plusIdEPddEEEvT_T0_DpT1_.num_named_barrier, 0
	.set _ZN2at6native12_GLOBAL__N_125multi_tensor_apply_kernelINS1_18TensorListMetadataILi1EEENS1_27BinaryOpScalarTensorFunctorIdLi1ELi1ELi0EEEJSt4plusIdEPddEEEvT_T0_DpT1_.private_seg_size, 0
	.set _ZN2at6native12_GLOBAL__N_125multi_tensor_apply_kernelINS1_18TensorListMetadataILi1EEENS1_27BinaryOpScalarTensorFunctorIdLi1ELi1ELi0EEEJSt4plusIdEPddEEEvT_T0_DpT1_.uses_vcc, 1
	.set _ZN2at6native12_GLOBAL__N_125multi_tensor_apply_kernelINS1_18TensorListMetadataILi1EEENS1_27BinaryOpScalarTensorFunctorIdLi1ELi1ELi0EEEJSt4plusIdEPddEEEvT_T0_DpT1_.uses_flat_scratch, 0
	.set _ZN2at6native12_GLOBAL__N_125multi_tensor_apply_kernelINS1_18TensorListMetadataILi1EEENS1_27BinaryOpScalarTensorFunctorIdLi1ELi1ELi0EEEJSt4plusIdEPddEEEvT_T0_DpT1_.has_dyn_sized_stack, 0
	.set _ZN2at6native12_GLOBAL__N_125multi_tensor_apply_kernelINS1_18TensorListMetadataILi1EEENS1_27BinaryOpScalarTensorFunctorIdLi1ELi1ELi0EEEJSt4plusIdEPddEEEvT_T0_DpT1_.has_recursion, 0
	.set _ZN2at6native12_GLOBAL__N_125multi_tensor_apply_kernelINS1_18TensorListMetadataILi1EEENS1_27BinaryOpScalarTensorFunctorIdLi1ELi1ELi0EEEJSt4plusIdEPddEEEvT_T0_DpT1_.has_indirect_call, 0
	.section	.AMDGPU.csdata,"",@progbits
; Kernel info:
; codeLenInByte = 1336
; TotalNumSgprs: 31
; NumVgprs: 22
; ScratchSize: 0
; MemoryBound: 0
; FloatMode: 240
; IeeeMode: 1
; LDSByteSize: 0 bytes/workgroup (compile time only)
; SGPRBlocks: 0
; VGPRBlocks: 2
; NumSGPRsForWavesPerEU: 31
; NumVGPRsForWavesPerEU: 22
; Occupancy: 16
; WaveLimiterHint : 0
; COMPUTE_PGM_RSRC2:SCRATCH_EN: 0
; COMPUTE_PGM_RSRC2:USER_SGPR: 2
; COMPUTE_PGM_RSRC2:TRAP_HANDLER: 0
; COMPUTE_PGM_RSRC2:TGID_X_EN: 1
; COMPUTE_PGM_RSRC2:TGID_Y_EN: 0
; COMPUTE_PGM_RSRC2:TGID_Z_EN: 0
; COMPUTE_PGM_RSRC2:TIDIG_COMP_CNT: 0
	.section	.text._ZN2at6native12_GLOBAL__N_125multi_tensor_apply_kernelINS1_18TensorListMetadataILi1EEENS1_27BinaryOpScalarTensorFunctorIfLi1ELi1ELi0EEEJSt4plusIfEPffEEEvT_T0_DpT1_,"axG",@progbits,_ZN2at6native12_GLOBAL__N_125multi_tensor_apply_kernelINS1_18TensorListMetadataILi1EEENS1_27BinaryOpScalarTensorFunctorIfLi1ELi1ELi0EEEJSt4plusIfEPffEEEvT_T0_DpT1_,comdat
	.globl	_ZN2at6native12_GLOBAL__N_125multi_tensor_apply_kernelINS1_18TensorListMetadataILi1EEENS1_27BinaryOpScalarTensorFunctorIfLi1ELi1ELi0EEEJSt4plusIfEPffEEEvT_T0_DpT1_ ; -- Begin function _ZN2at6native12_GLOBAL__N_125multi_tensor_apply_kernelINS1_18TensorListMetadataILi1EEENS1_27BinaryOpScalarTensorFunctorIfLi1ELi1ELi0EEEJSt4plusIfEPffEEEvT_T0_DpT1_
	.p2align	8
	.type	_ZN2at6native12_GLOBAL__N_125multi_tensor_apply_kernelINS1_18TensorListMetadataILi1EEENS1_27BinaryOpScalarTensorFunctorIfLi1ELi1ELi0EEEJSt4plusIfEPffEEEvT_T0_DpT1_,@function
_ZN2at6native12_GLOBAL__N_125multi_tensor_apply_kernelINS1_18TensorListMetadataILi1EEENS1_27BinaryOpScalarTensorFunctorIfLi1ELi1ELi0EEEJSt4plusIfEPffEEEvT_T0_DpT1_: ; @_ZN2at6native12_GLOBAL__N_125multi_tensor_apply_kernelINS1_18TensorListMetadataILi1EEENS1_27BinaryOpScalarTensorFunctorIfLi1ELi1ELi0EEEJSt4plusIfEPffEEEvT_T0_DpT1_
; %bb.0:
	s_mov_b32 s2, ttmp9
	s_mov_b32 s3, 0
	s_delay_alu instid0(SALU_CYCLE_1)
	s_mul_u64 s[4:5], s[2:3], 3
	s_add_nc_u64 s[6:7], s[0:1], s[2:3]
	s_mov_b32 s17, s3
	s_add_nc_u64 s[4:5], s[6:7], s[4:5]
	s_clause 0x1
	s_load_b32 s4, s[4:5], 0x820
	s_load_u8 s2, s[0:1], ttmp9 offset:0x6e0
	s_wait_kmcnt 0x0
	s_ashr_i32 s5, s4, 31
	s_lshl_b32 s2, s2, 3
	s_clause 0x2
	s_load_b64 s[6:7], s[0:1], s2 offset:0x0
	s_load_b64 s[14:15], s[0:1], s2 offset:0x370
	s_load_b96 s[8:10], s[0:1], 0xd30
	s_lshl_b64 s[12:13], s[4:5], 18
	s_lshl_b64 s[4:5], s[4:5], 16
	s_wait_kmcnt 0x0
	s_and_b32 s2, s6, 15
	s_and_b32 s16, s14, 3
	s_sub_nc_u64 s[14:15], s[14:15], s[4:5]
	s_or_b64 s[2:3], s[2:3], s[16:17]
	s_delay_alu instid0(SALU_CYCLE_1)
	s_cmp_eq_u64 s[2:3], 0
	s_cbranch_scc1 .LBB6_21
; %bb.1:
	v_cmp_lt_i64_e64 s2, s[14:15], 1
	s_and_b32 vcc_lo, exec_lo, s2
	s_cbranch_vccnz .LBB6_20
; %bb.2:
	s_load_b32 s2, s[0:1], 0xd4c
	v_cmp_gt_i64_e64 s11, 0x10000, s[14:15]
	v_lshlrev_b32_e32 v1, 2, v0
	s_add_nc_u64 s[4:5], s[6:7], s[12:13]
	s_mov_b32 s3, 0
	v_cmp_gt_u64_e64 s16, 0x10000, s[14:15]
	s_mov_b32 s17, s3
	v_add_co_u32 v1, s18, s4, v1
	s_and_b32 s11, s11, exec_lo
	v_add_co_ci_u32_e64 v2, null, s5, 0, s18
	s_cselect_b32 s19, s15, 0
	s_cselect_b32 s18, s14, 0x10000
	v_mov_b32_e32 v5, 0
	s_wait_kmcnt 0x0
	s_and_b32 s2, s2, 0xffff
	s_and_b32 s11, s16, exec_lo
	s_mul_u64 s[22:23], s[2:3], 12
	v_add_co_u32 v6, s3, v0, s2
	s_cselect_b32 s21, s15, 0
	s_cselect_b32 s20, s14, 0x10000
	s_lshl_b32 s11, s2, 1
	v_lshlrev_b32_e32 v3, 2, v6
	s_mul_i32 s24, s2, 3
	v_add_co_ci_u32_e64 v9, null, 0, 0, s3
	v_add_co_u32 v10, s3, s11, v0
	v_add_co_u32 v7, s24, s24, v0
	s_wait_alu 0xf1ff
	v_add_co_ci_u32_e64 v11, null, 0, 0, s3
	v_add_co_u32 v3, s3, s4, v3
	v_add_co_ci_u32_e64 v8, null, 0, 0, s24
	s_wait_alu 0xf1ff
	v_add_co_ci_u32_e64 v4, null, s5, 0, s3
	s_lshl_b32 s16, s2, 2
	s_lshl_b32 s11, s2, 4
	;; [unrolled: 1-line block ×3, first 2 shown]
	s_mov_b64 s[24:25], 0
	s_branch .LBB6_4
.LBB6_3:                                ;   in Loop: Header=BB6_4 Depth=1
	s_wait_alu 0xfffe
	s_or_b32 exec_lo, exec_lo, s2
	s_add_nc_u64 s[24:25], s[24:25], s[16:17]
	v_add_co_u32 v1, vcc_lo, v1, s11
	s_wait_alu 0xfffe
	v_cmp_lt_i64_e64 s2, s[24:25], s[18:19]
	s_wait_alu 0xfffd
	v_add_co_ci_u32_e64 v2, null, 0, v2, vcc_lo
	v_add_co_u32 v3, vcc_lo, v3, s11
	s_wait_alu 0xfffd
	v_add_co_ci_u32_e64 v4, null, 0, v4, vcc_lo
	s_and_b32 vcc_lo, exec_lo, s2
	s_wait_alu 0xfffe
	s_cbranch_vccz .LBB6_20
.LBB6_4:                                ; =>This Inner Loop Header: Depth=1
	s_wait_alu 0xfffe
	v_add_co_u32 v12, s2, v0, s24
	s_wait_alu 0xf1ff
	v_add_co_ci_u32_e64 v13, null, 0, s25, s2
	s_delay_alu instid0(VALU_DEP_1)
	v_cmp_gt_u64_e32 vcc_lo, s[20:21], v[12:13]
	v_mov_b32_e32 v12, 0
	s_and_saveexec_b32 s2, vcc_lo
	s_cbranch_execz .LBB6_6
; %bb.5:                                ;   in Loop: Header=BB6_4 Depth=1
	global_load_b32 v12, v[1:2], off
.LBB6_6:                                ;   in Loop: Header=BB6_4 Depth=1
	s_wait_alu 0xfffe
	s_or_b32 exec_lo, exec_lo, s2
	v_add_co_u32 v13, s2, v6, s24
	s_wait_alu 0xf1ff
	v_add_co_ci_u32_e64 v14, null, s25, v9, s2
	s_delay_alu instid0(VALU_DEP_1)
	v_cmp_gt_u64_e64 s2, s[20:21], v[13:14]
	v_dual_mov_b32 v13, 0 :: v_dual_mov_b32 v14, 0
	s_and_saveexec_b32 s3, s2
	s_cbranch_execz .LBB6_8
; %bb.7:                                ;   in Loop: Header=BB6_4 Depth=1
	global_load_b32 v14, v[3:4], off
.LBB6_8:                                ;   in Loop: Header=BB6_4 Depth=1
	s_wait_alu 0xfffe
	s_or_b32 exec_lo, exec_lo, s3
	v_add_co_u32 v15, s3, v10, s24
	s_wait_alu 0xf1ff
	v_add_co_ci_u32_e64 v16, null, s25, v11, s3
	s_delay_alu instid0(VALU_DEP_1)
	v_cmp_gt_u64_e64 s3, s[20:21], v[15:16]
	s_and_saveexec_b32 s5, s3
	s_cbranch_execz .LBB6_10
; %bb.9:                                ;   in Loop: Header=BB6_4 Depth=1
	v_add_co_u32 v15, s4, v1, s26
	s_wait_alu 0xf1ff
	v_add_co_ci_u32_e64 v16, null, 0, v2, s4
	global_load_b32 v13, v[15:16], off
.LBB6_10:                               ;   in Loop: Header=BB6_4 Depth=1
	s_wait_alu 0xfffe
	s_or_b32 exec_lo, exec_lo, s5
	v_add_co_u32 v15, s4, v7, s24
	s_wait_alu 0xf1ff
	v_add_co_ci_u32_e64 v16, null, s25, v8, s4
	s_delay_alu instid0(VALU_DEP_1)
	v_cmp_gt_u64_e64 s4, s[20:21], v[15:16]
	v_mov_b32_e32 v15, 0
	s_and_saveexec_b32 s27, s4
	s_cbranch_execz .LBB6_12
; %bb.11:                               ;   in Loop: Header=BB6_4 Depth=1
	v_add_co_u32 v15, s5, v1, s22
	s_wait_alu 0xf1ff
	v_add_co_ci_u32_e64 v16, null, s23, v2, s5
	global_load_b32 v15, v[15:16], off
.LBB6_12:                               ;   in Loop: Header=BB6_4 Depth=1
	s_wait_alu 0xfffe
	s_or_b32 exec_lo, exec_lo, s27
	global_load_b32 v16, v5, s[8:9]
	s_wait_loadcnt 0x0
	v_mul_f32_e32 v16, s10, v16
	s_and_saveexec_b32 s5, vcc_lo
	s_cbranch_execnz .LBB6_16
; %bb.13:                               ;   in Loop: Header=BB6_4 Depth=1
	s_wait_alu 0xfffe
	s_or_b32 exec_lo, exec_lo, s5
	s_and_saveexec_b32 s5, s2
	s_cbranch_execnz .LBB6_17
.LBB6_14:                               ;   in Loop: Header=BB6_4 Depth=1
	s_wait_alu 0xfffe
	s_or_b32 exec_lo, exec_lo, s5
	s_and_saveexec_b32 s2, s3
	s_cbranch_execnz .LBB6_18
.LBB6_15:                               ;   in Loop: Header=BB6_4 Depth=1
	s_wait_alu 0xfffe
	s_or_b32 exec_lo, exec_lo, s2
	s_and_saveexec_b32 s2, s4
	s_cbranch_execz .LBB6_3
	s_branch .LBB6_19
.LBB6_16:                               ;   in Loop: Header=BB6_4 Depth=1
	s_delay_alu instid0(VALU_DEP_1)
	v_add_f32_e32 v12, v12, v16
	global_store_b32 v[1:2], v12, off
	s_wait_alu 0xfffe
	s_or_b32 exec_lo, exec_lo, s5
	s_and_saveexec_b32 s5, s2
	s_cbranch_execz .LBB6_14
.LBB6_17:                               ;   in Loop: Header=BB6_4 Depth=1
	v_add_f32_e32 v12, v14, v16
	global_store_b32 v[3:4], v12, off
	s_wait_alu 0xfffe
	s_or_b32 exec_lo, exec_lo, s5
	s_and_saveexec_b32 s2, s3
	s_cbranch_execz .LBB6_15
.LBB6_18:                               ;   in Loop: Header=BB6_4 Depth=1
	v_add_co_u32 v12, vcc_lo, v1, s26
	v_add_f32_e32 v14, v13, v16
	s_wait_alu 0xfffd
	v_add_co_ci_u32_e64 v13, null, 0, v2, vcc_lo
	global_store_b32 v[12:13], v14, off
	s_wait_alu 0xfffe
	s_or_b32 exec_lo, exec_lo, s2
	s_and_saveexec_b32 s2, s4
	s_cbranch_execz .LBB6_3
.LBB6_19:                               ;   in Loop: Header=BB6_4 Depth=1
	v_add_co_u32 v12, vcc_lo, v1, s22
	v_add_f32_e32 v14, v15, v16
	s_wait_alu 0xfffd
	v_add_co_ci_u32_e64 v13, null, s23, v2, vcc_lo
	global_store_b32 v[12:13], v14, off
	s_branch .LBB6_3
.LBB6_20:
	s_cbranch_execz .LBB6_22
	s_branch .LBB6_25
.LBB6_21:
.LBB6_22:
	v_cmp_gt_i64_e64 s2, 0x10000, s[14:15]
	v_dual_mov_b32 v2, 0 :: v_dual_lshlrev_b32 v1, 2, v0
	s_mov_b32 s4, 0
	s_mov_b32 s5, exec_lo
	s_and_b32 s2, s2, exec_lo
	s_cselect_b32 s3, s15, 0
	s_cselect_b32 s2, s14, 0x10000
	s_wait_alu 0xfffe
	v_cmpx_gt_i64_e64 s[2:3], v[1:2]
	s_cbranch_execz .LBB6_25
; %bb.23:
	s_load_b32 s5, s[0:1], 0xd4c
	v_lshlrev_b32_e32 v1, 4, v0
	s_add_nc_u64 s[0:1], s[6:7], s[12:13]
	s_delay_alu instid0(VALU_DEP_1) | instid1(SALU_CYCLE_1)
	v_add_co_u32 v3, s0, s0, v1
	s_wait_alu 0xf1ff
	v_add_co_ci_u32_e64 v4, null, s1, 0, s0
	v_mov_b32_e32 v1, v2
	s_delay_alu instid0(VALU_DEP_3) | instskip(SKIP_1) | instid1(VALU_DEP_3)
	v_add_co_u32 v3, vcc_lo, v3, 8
	s_wait_alu 0xfffd
	v_add_co_ci_u32_e64 v4, null, 0, v4, vcc_lo
	s_wait_kmcnt 0x0
	s_and_b32 s1, s5, 0xffff
	s_wait_alu 0xfffe
	s_lshl_b32 s5, s1, 4
.LBB6_24:                               ; =>This Inner Loop Header: Depth=1
	global_load_b128 v[5:8], v[3:4], off offset:-8
	global_load_b32 v11, v2, s[8:9]
	v_add_co_u32 v0, vcc_lo, v0, s1
	s_wait_alu 0xfffd
	v_add_co_ci_u32_e64 v1, null, 0, v1, vcc_lo
	s_delay_alu instid0(VALU_DEP_1) | instskip(NEXT) | instid1(VALU_DEP_1)
	v_lshlrev_b64_e32 v[9:10], 2, v[0:1]
	v_cmp_le_i64_e32 vcc_lo, s[2:3], v[9:10]
	s_or_b32 s4, vcc_lo, s4
	s_wait_loadcnt 0x0
	v_fma_f32 v5, s10, v11, v5
	v_fma_f32 v6, s10, v11, v6
	;; [unrolled: 1-line block ×3, first 2 shown]
	v_fmac_f32_e32 v8, s10, v11
	global_store_b128 v[3:4], v[5:8], off offset:-8
	s_wait_alu 0xfffe
	v_add_co_u32 v3, s0, v3, s5
	s_wait_alu 0xf1ff
	v_add_co_ci_u32_e64 v4, null, 0, v4, s0
	s_and_not1_b32 exec_lo, exec_lo, s4
	s_cbranch_execnz .LBB6_24
.LBB6_25:
	s_endpgm
	.section	.rodata,"a",@progbits
	.p2align	6, 0x0
	.amdhsa_kernel _ZN2at6native12_GLOBAL__N_125multi_tensor_apply_kernelINS1_18TensorListMetadataILi1EEENS1_27BinaryOpScalarTensorFunctorIfLi1ELi1ELi0EEEJSt4plusIfEPffEEEvT_T0_DpT1_
		.amdhsa_group_segment_fixed_size 0
		.amdhsa_private_segment_fixed_size 0
		.amdhsa_kernarg_size 3648
		.amdhsa_user_sgpr_count 2
		.amdhsa_user_sgpr_dispatch_ptr 0
		.amdhsa_user_sgpr_queue_ptr 0
		.amdhsa_user_sgpr_kernarg_segment_ptr 1
		.amdhsa_user_sgpr_dispatch_id 0
		.amdhsa_user_sgpr_private_segment_size 0
		.amdhsa_wavefront_size32 1
		.amdhsa_uses_dynamic_stack 0
		.amdhsa_enable_private_segment 0
		.amdhsa_system_sgpr_workgroup_id_x 1
		.amdhsa_system_sgpr_workgroup_id_y 0
		.amdhsa_system_sgpr_workgroup_id_z 0
		.amdhsa_system_sgpr_workgroup_info 0
		.amdhsa_system_vgpr_workitem_id 0
		.amdhsa_next_free_vgpr 17
		.amdhsa_next_free_sgpr 28
		.amdhsa_reserve_vcc 1
		.amdhsa_float_round_mode_32 0
		.amdhsa_float_round_mode_16_64 0
		.amdhsa_float_denorm_mode_32 3
		.amdhsa_float_denorm_mode_16_64 3
		.amdhsa_fp16_overflow 0
		.amdhsa_workgroup_processor_mode 1
		.amdhsa_memory_ordered 1
		.amdhsa_forward_progress 1
		.amdhsa_inst_pref_size 10
		.amdhsa_round_robin_scheduling 0
		.amdhsa_exception_fp_ieee_invalid_op 0
		.amdhsa_exception_fp_denorm_src 0
		.amdhsa_exception_fp_ieee_div_zero 0
		.amdhsa_exception_fp_ieee_overflow 0
		.amdhsa_exception_fp_ieee_underflow 0
		.amdhsa_exception_fp_ieee_inexact 0
		.amdhsa_exception_int_div_zero 0
	.end_amdhsa_kernel
	.section	.text._ZN2at6native12_GLOBAL__N_125multi_tensor_apply_kernelINS1_18TensorListMetadataILi1EEENS1_27BinaryOpScalarTensorFunctorIfLi1ELi1ELi0EEEJSt4plusIfEPffEEEvT_T0_DpT1_,"axG",@progbits,_ZN2at6native12_GLOBAL__N_125multi_tensor_apply_kernelINS1_18TensorListMetadataILi1EEENS1_27BinaryOpScalarTensorFunctorIfLi1ELi1ELi0EEEJSt4plusIfEPffEEEvT_T0_DpT1_,comdat
.Lfunc_end6:
	.size	_ZN2at6native12_GLOBAL__N_125multi_tensor_apply_kernelINS1_18TensorListMetadataILi1EEENS1_27BinaryOpScalarTensorFunctorIfLi1ELi1ELi0EEEJSt4plusIfEPffEEEvT_T0_DpT1_, .Lfunc_end6-_ZN2at6native12_GLOBAL__N_125multi_tensor_apply_kernelINS1_18TensorListMetadataILi1EEENS1_27BinaryOpScalarTensorFunctorIfLi1ELi1ELi0EEEJSt4plusIfEPffEEEvT_T0_DpT1_
                                        ; -- End function
	.set _ZN2at6native12_GLOBAL__N_125multi_tensor_apply_kernelINS1_18TensorListMetadataILi1EEENS1_27BinaryOpScalarTensorFunctorIfLi1ELi1ELi0EEEJSt4plusIfEPffEEEvT_T0_DpT1_.num_vgpr, 17
	.set _ZN2at6native12_GLOBAL__N_125multi_tensor_apply_kernelINS1_18TensorListMetadataILi1EEENS1_27BinaryOpScalarTensorFunctorIfLi1ELi1ELi0EEEJSt4plusIfEPffEEEvT_T0_DpT1_.num_agpr, 0
	.set _ZN2at6native12_GLOBAL__N_125multi_tensor_apply_kernelINS1_18TensorListMetadataILi1EEENS1_27BinaryOpScalarTensorFunctorIfLi1ELi1ELi0EEEJSt4plusIfEPffEEEvT_T0_DpT1_.numbered_sgpr, 28
	.set _ZN2at6native12_GLOBAL__N_125multi_tensor_apply_kernelINS1_18TensorListMetadataILi1EEENS1_27BinaryOpScalarTensorFunctorIfLi1ELi1ELi0EEEJSt4plusIfEPffEEEvT_T0_DpT1_.num_named_barrier, 0
	.set _ZN2at6native12_GLOBAL__N_125multi_tensor_apply_kernelINS1_18TensorListMetadataILi1EEENS1_27BinaryOpScalarTensorFunctorIfLi1ELi1ELi0EEEJSt4plusIfEPffEEEvT_T0_DpT1_.private_seg_size, 0
	.set _ZN2at6native12_GLOBAL__N_125multi_tensor_apply_kernelINS1_18TensorListMetadataILi1EEENS1_27BinaryOpScalarTensorFunctorIfLi1ELi1ELi0EEEJSt4plusIfEPffEEEvT_T0_DpT1_.uses_vcc, 1
	.set _ZN2at6native12_GLOBAL__N_125multi_tensor_apply_kernelINS1_18TensorListMetadataILi1EEENS1_27BinaryOpScalarTensorFunctorIfLi1ELi1ELi0EEEJSt4plusIfEPffEEEvT_T0_DpT1_.uses_flat_scratch, 0
	.set _ZN2at6native12_GLOBAL__N_125multi_tensor_apply_kernelINS1_18TensorListMetadataILi1EEENS1_27BinaryOpScalarTensorFunctorIfLi1ELi1ELi0EEEJSt4plusIfEPffEEEvT_T0_DpT1_.has_dyn_sized_stack, 0
	.set _ZN2at6native12_GLOBAL__N_125multi_tensor_apply_kernelINS1_18TensorListMetadataILi1EEENS1_27BinaryOpScalarTensorFunctorIfLi1ELi1ELi0EEEJSt4plusIfEPffEEEvT_T0_DpT1_.has_recursion, 0
	.set _ZN2at6native12_GLOBAL__N_125multi_tensor_apply_kernelINS1_18TensorListMetadataILi1EEENS1_27BinaryOpScalarTensorFunctorIfLi1ELi1ELi0EEEJSt4plusIfEPffEEEvT_T0_DpT1_.has_indirect_call, 0
	.section	.AMDGPU.csdata,"",@progbits
; Kernel info:
; codeLenInByte = 1272
; TotalNumSgprs: 30
; NumVgprs: 17
; ScratchSize: 0
; MemoryBound: 0
; FloatMode: 240
; IeeeMode: 1
; LDSByteSize: 0 bytes/workgroup (compile time only)
; SGPRBlocks: 0
; VGPRBlocks: 2
; NumSGPRsForWavesPerEU: 30
; NumVGPRsForWavesPerEU: 17
; Occupancy: 16
; WaveLimiterHint : 0
; COMPUTE_PGM_RSRC2:SCRATCH_EN: 0
; COMPUTE_PGM_RSRC2:USER_SGPR: 2
; COMPUTE_PGM_RSRC2:TRAP_HANDLER: 0
; COMPUTE_PGM_RSRC2:TGID_X_EN: 1
; COMPUTE_PGM_RSRC2:TGID_Y_EN: 0
; COMPUTE_PGM_RSRC2:TGID_Z_EN: 0
; COMPUTE_PGM_RSRC2:TIDIG_COMP_CNT: 0
	.section	.text._ZN2at6native12_GLOBAL__N_125multi_tensor_apply_kernelINS1_18TensorListMetadataILi1EEENS1_27BinaryOpScalarTensorFunctorIN3c107complexIdEELi1ELi1ELi0EEEJSt4plusIS8_EPS8_S8_EEEvT_T0_DpT1_,"axG",@progbits,_ZN2at6native12_GLOBAL__N_125multi_tensor_apply_kernelINS1_18TensorListMetadataILi1EEENS1_27BinaryOpScalarTensorFunctorIN3c107complexIdEELi1ELi1ELi0EEEJSt4plusIS8_EPS8_S8_EEEvT_T0_DpT1_,comdat
	.globl	_ZN2at6native12_GLOBAL__N_125multi_tensor_apply_kernelINS1_18TensorListMetadataILi1EEENS1_27BinaryOpScalarTensorFunctorIN3c107complexIdEELi1ELi1ELi0EEEJSt4plusIS8_EPS8_S8_EEEvT_T0_DpT1_ ; -- Begin function _ZN2at6native12_GLOBAL__N_125multi_tensor_apply_kernelINS1_18TensorListMetadataILi1EEENS1_27BinaryOpScalarTensorFunctorIN3c107complexIdEELi1ELi1ELi0EEEJSt4plusIS8_EPS8_S8_EEEvT_T0_DpT1_
	.p2align	8
	.type	_ZN2at6native12_GLOBAL__N_125multi_tensor_apply_kernelINS1_18TensorListMetadataILi1EEENS1_27BinaryOpScalarTensorFunctorIN3c107complexIdEELi1ELi1ELi0EEEJSt4plusIS8_EPS8_S8_EEEvT_T0_DpT1_,@function
_ZN2at6native12_GLOBAL__N_125multi_tensor_apply_kernelINS1_18TensorListMetadataILi1EEENS1_27BinaryOpScalarTensorFunctorIN3c107complexIdEELi1ELi1ELi0EEEJSt4plusIS8_EPS8_S8_EEEvT_T0_DpT1_: ; @_ZN2at6native12_GLOBAL__N_125multi_tensor_apply_kernelINS1_18TensorListMetadataILi1EEENS1_27BinaryOpScalarTensorFunctorIN3c107complexIdEELi1ELi1ELi0EEEJSt4plusIS8_EPS8_S8_EEEvT_T0_DpT1_
; %bb.0:
	s_load_u8 s8, s[0:1], ttmp9 offset:0x6e0
	s_mov_b32 s2, ttmp9
	s_mov_b32 s3, 0
	s_delay_alu instid0(SALU_CYCLE_1)
	s_mul_u64 s[4:5], s[2:3], 3
	s_add_nc_u64 s[6:7], s[0:1], s[2:3]
	s_mov_b32 s21, s3
	s_add_nc_u64 s[4:5], s[6:7], s[4:5]
	s_load_b32 s4, s[4:5], 0x820
	s_wait_kmcnt 0x0
	s_lshl_b32 s2, s8, 3
	s_clause 0x3
	s_load_b64 s[12:13], s[0:1], s2 offset:0x0
	s_load_b64 s[16:17], s[0:1], s2 offset:0x370
	s_load_b64 s[6:7], s[0:1], 0xd30
	s_load_b128 s[8:11], s[0:1], 0xd40
	s_ashr_i32 s5, s4, 31
	s_delay_alu instid0(SALU_CYCLE_1)
	s_lshl_b64 s[14:15], s[4:5], 20
	s_lshl_b64 s[4:5], s[4:5], 16
	s_wait_kmcnt 0x0
	s_add_nc_u64 s[18:19], s[12:13], s[14:15]
	s_and_b32 s20, s16, 3
	s_and_b32 s2, s18, 63
	s_sub_nc_u64 s[16:17], s[16:17], s[4:5]
	s_or_b64 s[2:3], s[2:3], s[20:21]
	s_delay_alu instid0(SALU_CYCLE_1)
	s_cmp_eq_u64 s[2:3], 0
	s_cbranch_scc1 .LBB7_21
; %bb.1:
	v_cmp_lt_i64_e64 s2, s[16:17], 1
	s_and_b32 vcc_lo, exec_lo, s2
	s_cbranch_vccnz .LBB7_20
; %bb.2:
	s_load_b32 s2, s[0:1], 0xd5c
	v_cmp_gt_i64_e64 s3, 0x10000, s[16:17]
	v_cmp_gt_u64_e64 s4, 0x10000, s[16:17]
	v_dual_mov_b32 v18, 0 :: v_dual_lshlrev_b32 v17, 4, v0
	s_mov_b32 s21, 0
	s_mov_b64 s[28:29], 0
	s_and_b32 s3, s3, exec_lo
	s_cselect_b32 s23, s17, 0
	s_cselect_b32 s22, s16, 0x10000
	s_mov_b32 s27, s21
	s_wait_kmcnt 0x0
	s_and_b32 s2, s2, 0xffff
	s_and_b32 s3, s4, exec_lo
	s_mul_i32 s4, s2, 3
	v_add_co_u32 v25, s5, v0, s2
	v_mad_co_u64_u32 v[19:20], null, s2, 48, v[17:18]
	s_cselect_b32 s25, s17, 0
	s_cselect_b32 s24, s16, 0x10000
	v_add_co_ci_u32_e64 v26, null, 0, 0, s5
	s_lshl_b32 s5, s2, 5
	v_add_co_u32 v27, s4, s4, v0
	s_wait_alu 0xf1ff
	v_add_co_ci_u32_e64 v28, null, 0, 0, s4
	s_wait_alu 0xfffe
	v_add_co_u32 v1, s4, s5, v17
	s_lshl_b32 s3, s2, 1
	v_lshlrev_b32_e32 v29, 4, v25
	s_wait_alu 0xfffe
	v_add_co_u32 v32, s3, s3, v0
	v_or_b32_e32 v19, 8, v19
	v_add_co_ci_u32_e64 v30, null, 0, 0, s4
	v_or_b32_e32 v31, 8, v1
	s_wait_alu 0xf1ff
	v_add_co_ci_u32_e64 v33, null, 0, 0, s3
	s_lshl_b32 s20, s2, 2
	s_lshl_b32 s26, s2, 6
	s_branch .LBB7_4
.LBB7_3:                                ;   in Loop: Header=BB7_4 Depth=1
	s_wait_alu 0xfffe
	s_or_b32 exec_lo, exec_lo, s2
	s_add_nc_u64 s[28:29], s[28:29], s[20:21]
	s_add_nc_u64 s[18:19], s[18:19], s[26:27]
	s_wait_alu 0xfffe
	v_cmp_lt_i64_e64 s2, s[28:29], s[22:23]
	s_and_b32 vcc_lo, exec_lo, s2
	s_wait_alu 0xfffe
	s_cbranch_vccz .LBB7_20
.LBB7_4:                                ; =>This Inner Loop Header: Depth=1
	v_add_co_u32 v1, s2, v0, s28
	s_wait_alu 0xf1ff
	v_add_co_ci_u32_e64 v2, null, 0, s29, s2
	v_mov_b32_e32 v3, 0
	v_dual_mov_b32 v4, 0 :: v_dual_mov_b32 v7, 0
	s_delay_alu instid0(VALU_DEP_3)
	v_cmp_gt_u64_e32 vcc_lo, s[24:25], v[1:2]
	v_dual_mov_b32 v5, 0 :: v_dual_mov_b32 v8, 0
	v_mov_b32_e32 v6, 0
	s_and_saveexec_b32 s2, vcc_lo
	s_cbranch_execz .LBB7_6
; %bb.5:                                ;   in Loop: Header=BB7_4 Depth=1
	v_add_co_u32 v1, s3, s18, v17
	s_wait_alu 0xf1ff
	v_add_co_ci_u32_e64 v2, null, s19, 0, s3
	global_load_b128 v[5:8], v[1:2], off
.LBB7_6:                                ;   in Loop: Header=BB7_4 Depth=1
	s_wait_alu 0xfffe
	s_or_b32 exec_lo, exec_lo, s2
	v_add_co_u32 v1, s2, v25, s28
	s_wait_alu 0xf1ff
	v_add_co_ci_u32_e64 v2, null, s29, v26, s2
	s_delay_alu instid0(VALU_DEP_1)
	v_cmp_gt_u64_e64 s2, s[24:25], v[1:2]
	v_mov_b32_e32 v1, 0
	v_mov_b32_e32 v2, 0
	s_and_saveexec_b32 s3, s2
	s_cbranch_execz .LBB7_8
; %bb.7:                                ;   in Loop: Header=BB7_4 Depth=1
	v_add_co_u32 v1, s4, s18, v29
	s_wait_alu 0xf1ff
	v_add_co_ci_u32_e64 v2, null, s19, 0, s4
	global_load_b128 v[1:4], v[1:2], off
.LBB7_8:                                ;   in Loop: Header=BB7_4 Depth=1
	s_wait_alu 0xfffe
	s_or_b32 exec_lo, exec_lo, s3
	v_add_co_u32 v9, s3, v32, s28
	s_wait_alu 0xf1ff
	v_add_co_ci_u32_e64 v10, null, s29, v33, s3
	v_mov_b32_e32 v11, 0
	v_dual_mov_b32 v12, 0 :: v_dual_mov_b32 v15, 0
	s_delay_alu instid0(VALU_DEP_3)
	v_cmp_gt_u64_e64 s3, s[24:25], v[9:10]
	v_dual_mov_b32 v13, 0 :: v_dual_mov_b32 v16, 0
	v_mov_b32_e32 v14, 0
	s_and_saveexec_b32 s5, s3
	s_cbranch_execz .LBB7_10
; %bb.9:                                ;   in Loop: Header=BB7_4 Depth=1
	v_add_co_u32 v9, s4, s18, v31
	s_wait_alu 0xf1ff
	v_add_co_ci_u32_e64 v10, null, s19, v30, s4
	global_load_b128 v[13:16], v[9:10], off offset:-8
.LBB7_10:                               ;   in Loop: Header=BB7_4 Depth=1
	s_wait_alu 0xfffe
	s_or_b32 exec_lo, exec_lo, s5
	v_add_co_u32 v9, s4, v27, s28
	s_wait_alu 0xf1ff
	v_add_co_ci_u32_e64 v10, null, s29, v28, s4
	s_delay_alu instid0(VALU_DEP_1)
	v_cmp_gt_u64_e64 s4, s[24:25], v[9:10]
	v_mov_b32_e32 v9, 0
	v_mov_b32_e32 v10, 0
	s_and_saveexec_b32 s30, s4
	s_cbranch_execz .LBB7_12
; %bb.11:                               ;   in Loop: Header=BB7_4 Depth=1
	v_add_co_u32 v9, s5, s18, v19
	s_wait_alu 0xf1ff
	v_add_co_ci_u32_e64 v10, null, s19, v20, s5
	global_load_b128 v[9:12], v[9:10], off offset:-8
.LBB7_12:                               ;   in Loop: Header=BB7_4 Depth=1
	s_wait_alu 0xfffe
	s_or_b32 exec_lo, exec_lo, s30
	global_load_b128 v[34:37], v18, s[6:7]
	s_wait_loadcnt 0x0
	v_mul_f64_e32 v[21:22], s[10:11], v[36:37]
	v_mul_f64_e32 v[23:24], s[8:9], v[36:37]
	s_delay_alu instid0(VALU_DEP_2) | instskip(NEXT) | instid1(VALU_DEP_2)
	v_fma_f64 v[21:22], s[8:9], v[34:35], -v[21:22]
	v_fma_f64 v[23:24], s[10:11], v[34:35], v[23:24]
	s_and_saveexec_b32 s5, vcc_lo
	s_cbranch_execnz .LBB7_16
; %bb.13:                               ;   in Loop: Header=BB7_4 Depth=1
	s_wait_alu 0xfffe
	s_or_b32 exec_lo, exec_lo, s5
	s_and_saveexec_b32 s5, s2
	s_cbranch_execnz .LBB7_17
.LBB7_14:                               ;   in Loop: Header=BB7_4 Depth=1
	s_wait_alu 0xfffe
	s_or_b32 exec_lo, exec_lo, s5
	s_and_saveexec_b32 s2, s3
	s_cbranch_execnz .LBB7_18
.LBB7_15:                               ;   in Loop: Header=BB7_4 Depth=1
	s_wait_alu 0xfffe
	s_or_b32 exec_lo, exec_lo, s2
	s_and_saveexec_b32 s2, s4
	s_cbranch_execz .LBB7_3
	s_branch .LBB7_19
.LBB7_16:                               ;   in Loop: Header=BB7_4 Depth=1
	s_delay_alu instid0(VALU_DEP_1) | instskip(NEXT) | instid1(VALU_DEP_3)
	v_add_f64_e32 v[7:8], v[7:8], v[23:24]
	v_add_f64_e32 v[5:6], v[5:6], v[21:22]
	v_add_co_u32 v34, s30, s18, v17
	s_wait_alu 0xf1ff
	v_add_co_ci_u32_e64 v35, null, s19, 0, s30
	global_store_b128 v[34:35], v[5:8], off
	s_wait_alu 0xfffe
	s_or_b32 exec_lo, exec_lo, s5
	s_and_saveexec_b32 s5, s2
	s_cbranch_execz .LBB7_14
.LBB7_17:                               ;   in Loop: Header=BB7_4 Depth=1
	s_delay_alu instid0(VALU_DEP_2) | instskip(NEXT) | instid1(VALU_DEP_2)
	v_add_f64_e32 v[1:2], v[1:2], v[21:22]
	v_add_f64_e32 v[3:4], v[3:4], v[23:24]
	v_add_co_u32 v5, s2, s18, v29
	s_wait_alu 0xf1ff
	v_add_co_ci_u32_e64 v6, null, s19, 0, s2
	global_store_b128 v[5:6], v[1:4], off
	s_wait_alu 0xfffe
	s_or_b32 exec_lo, exec_lo, s5
	s_and_saveexec_b32 s2, s3
	s_cbranch_execz .LBB7_15
.LBB7_18:                               ;   in Loop: Header=BB7_4 Depth=1
	s_delay_alu instid0(VALU_DEP_2) | instskip(NEXT) | instid1(VALU_DEP_2)
	v_add_f64_e32 v[1:2], v[13:14], v[21:22]
	v_add_f64_e32 v[3:4], v[15:16], v[23:24]
	v_add_co_u32 v5, vcc_lo, s18, v31
	s_wait_alu 0xfffd
	v_add_co_ci_u32_e64 v6, null, s19, v30, vcc_lo
	global_store_b128 v[5:6], v[1:4], off offset:-8
	s_wait_alu 0xfffe
	s_or_b32 exec_lo, exec_lo, s2
	s_and_saveexec_b32 s2, s4
	s_cbranch_execz .LBB7_3
.LBB7_19:                               ;   in Loop: Header=BB7_4 Depth=1
	s_delay_alu instid0(VALU_DEP_2) | instskip(NEXT) | instid1(VALU_DEP_2)
	v_add_f64_e32 v[1:2], v[9:10], v[21:22]
	v_add_f64_e32 v[3:4], v[11:12], v[23:24]
	v_add_co_u32 v5, vcc_lo, s18, v19
	s_wait_alu 0xfffd
	v_add_co_ci_u32_e64 v6, null, s19, v20, vcc_lo
	global_store_b128 v[5:6], v[1:4], off offset:-8
	s_branch .LBB7_3
.LBB7_20:
	s_cbranch_execz .LBB7_22
	s_branch .LBB7_25
.LBB7_21:
.LBB7_22:
	v_cmp_gt_i64_e64 s2, 0x10000, s[16:17]
	v_dual_mov_b32 v2, 0 :: v_dual_lshlrev_b32 v1, 2, v0
	s_mov_b32 s4, 0
	s_mov_b32 s5, exec_lo
	s_and_b32 s2, s2, exec_lo
	s_cselect_b32 s3, s17, 0
	s_cselect_b32 s2, s16, 0x10000
	s_wait_alu 0xfffe
	v_cmpx_gt_i64_e64 s[2:3], v[1:2]
	s_cbranch_execz .LBB7_25
; %bb.23:
	s_load_b32 s5, s[0:1], 0xd5c
	v_lshlrev_b32_e32 v3, 6, v0
	s_add_nc_u64 s[0:1], s[12:13], s[14:15]
	v_mov_b32_e32 v1, v2
	s_delay_alu instid0(VALU_DEP_2)
	v_add_co_u32 v3, s0, s0, v3
	s_wait_alu 0xf1ff
	v_add_co_ci_u32_e64 v4, null, s1, 0, s0
	s_wait_kmcnt 0x0
	s_and_b32 s1, s5, 0xffff
	s_wait_alu 0xfffe
	s_lshl_b32 s5, s1, 6
.LBB7_24:                               ; =>This Inner Loop Header: Depth=1
	global_load_b128 v[5:8], v2, s[6:7]
	s_clause 0x3
	global_load_b128 v[9:12], v[3:4], off
	global_load_b128 v[13:16], v[3:4], off offset:16
	global_load_b128 v[17:20], v[3:4], off offset:32
	;; [unrolled: 1-line block ×3, first 2 shown]
	v_add_co_u32 v0, vcc_lo, v0, s1
	s_wait_alu 0xfffd
	v_add_co_ci_u32_e64 v1, null, 0, v1, vcc_lo
	s_wait_loadcnt 0x4
	v_mul_f64_e32 v[25:26], s[10:11], v[7:8]
	v_mul_f64_e32 v[7:8], s[8:9], v[7:8]
	s_delay_alu instid0(VALU_DEP_2) | instskip(NEXT) | instid1(VALU_DEP_2)
	v_fma_f64 v[25:26], s[8:9], v[5:6], -v[25:26]
	v_fma_f64 v[27:28], s[10:11], v[5:6], v[7:8]
	s_wait_loadcnt 0x3
	s_delay_alu instid0(VALU_DEP_2) | instskip(NEXT) | instid1(VALU_DEP_2)
	v_add_f64_e32 v[5:6], v[9:10], v[25:26]
	v_add_f64_e32 v[7:8], v[11:12], v[27:28]
	s_wait_loadcnt 0x2
	v_add_f64_e32 v[9:10], v[13:14], v[25:26]
	v_add_f64_e32 v[11:12], v[15:16], v[27:28]
	s_wait_loadcnt 0x1
	;; [unrolled: 3-line block ×3, first 2 shown]
	v_add_f64_e32 v[17:18], v[21:22], v[25:26]
	v_add_f64_e32 v[19:20], v[23:24], v[27:28]
	v_lshlrev_b64_e32 v[21:22], 2, v[0:1]
	s_clause 0x3
	global_store_b128 v[3:4], v[5:8], off
	global_store_b128 v[3:4], v[9:12], off offset:16
	global_store_b128 v[3:4], v[13:16], off offset:32
	;; [unrolled: 1-line block ×3, first 2 shown]
	v_cmp_le_i64_e32 vcc_lo, s[2:3], v[21:22]
	s_wait_alu 0xfffe
	v_add_co_u32 v3, s0, v3, s5
	s_wait_alu 0xf1ff
	v_add_co_ci_u32_e64 v4, null, 0, v4, s0
	s_or_b32 s4, vcc_lo, s4
	s_wait_alu 0xfffe
	s_and_not1_b32 exec_lo, exec_lo, s4
	s_cbranch_execnz .LBB7_24
.LBB7_25:
	s_endpgm
	.section	.rodata,"a",@progbits
	.p2align	6, 0x0
	.amdhsa_kernel _ZN2at6native12_GLOBAL__N_125multi_tensor_apply_kernelINS1_18TensorListMetadataILi1EEENS1_27BinaryOpScalarTensorFunctorIN3c107complexIdEELi1ELi1ELi0EEEJSt4plusIS8_EPS8_S8_EEEvT_T0_DpT1_
		.amdhsa_group_segment_fixed_size 0
		.amdhsa_private_segment_fixed_size 0
		.amdhsa_kernarg_size 3664
		.amdhsa_user_sgpr_count 2
		.amdhsa_user_sgpr_dispatch_ptr 0
		.amdhsa_user_sgpr_queue_ptr 0
		.amdhsa_user_sgpr_kernarg_segment_ptr 1
		.amdhsa_user_sgpr_dispatch_id 0
		.amdhsa_user_sgpr_private_segment_size 0
		.amdhsa_wavefront_size32 1
		.amdhsa_uses_dynamic_stack 0
		.amdhsa_enable_private_segment 0
		.amdhsa_system_sgpr_workgroup_id_x 1
		.amdhsa_system_sgpr_workgroup_id_y 0
		.amdhsa_system_sgpr_workgroup_id_z 0
		.amdhsa_system_sgpr_workgroup_info 0
		.amdhsa_system_vgpr_workitem_id 0
		.amdhsa_next_free_vgpr 38
		.amdhsa_next_free_sgpr 31
		.amdhsa_reserve_vcc 1
		.amdhsa_float_round_mode_32 0
		.amdhsa_float_round_mode_16_64 0
		.amdhsa_float_denorm_mode_32 3
		.amdhsa_float_denorm_mode_16_64 3
		.amdhsa_fp16_overflow 0
		.amdhsa_workgroup_processor_mode 1
		.amdhsa_memory_ordered 1
		.amdhsa_forward_progress 1
		.amdhsa_inst_pref_size 12
		.amdhsa_round_robin_scheduling 0
		.amdhsa_exception_fp_ieee_invalid_op 0
		.amdhsa_exception_fp_denorm_src 0
		.amdhsa_exception_fp_ieee_div_zero 0
		.amdhsa_exception_fp_ieee_overflow 0
		.amdhsa_exception_fp_ieee_underflow 0
		.amdhsa_exception_fp_ieee_inexact 0
		.amdhsa_exception_int_div_zero 0
	.end_amdhsa_kernel
	.section	.text._ZN2at6native12_GLOBAL__N_125multi_tensor_apply_kernelINS1_18TensorListMetadataILi1EEENS1_27BinaryOpScalarTensorFunctorIN3c107complexIdEELi1ELi1ELi0EEEJSt4plusIS8_EPS8_S8_EEEvT_T0_DpT1_,"axG",@progbits,_ZN2at6native12_GLOBAL__N_125multi_tensor_apply_kernelINS1_18TensorListMetadataILi1EEENS1_27BinaryOpScalarTensorFunctorIN3c107complexIdEELi1ELi1ELi0EEEJSt4plusIS8_EPS8_S8_EEEvT_T0_DpT1_,comdat
.Lfunc_end7:
	.size	_ZN2at6native12_GLOBAL__N_125multi_tensor_apply_kernelINS1_18TensorListMetadataILi1EEENS1_27BinaryOpScalarTensorFunctorIN3c107complexIdEELi1ELi1ELi0EEEJSt4plusIS8_EPS8_S8_EEEvT_T0_DpT1_, .Lfunc_end7-_ZN2at6native12_GLOBAL__N_125multi_tensor_apply_kernelINS1_18TensorListMetadataILi1EEENS1_27BinaryOpScalarTensorFunctorIN3c107complexIdEELi1ELi1ELi0EEEJSt4plusIS8_EPS8_S8_EEEvT_T0_DpT1_
                                        ; -- End function
	.set _ZN2at6native12_GLOBAL__N_125multi_tensor_apply_kernelINS1_18TensorListMetadataILi1EEENS1_27BinaryOpScalarTensorFunctorIN3c107complexIdEELi1ELi1ELi0EEEJSt4plusIS8_EPS8_S8_EEEvT_T0_DpT1_.num_vgpr, 38
	.set _ZN2at6native12_GLOBAL__N_125multi_tensor_apply_kernelINS1_18TensorListMetadataILi1EEENS1_27BinaryOpScalarTensorFunctorIN3c107complexIdEELi1ELi1ELi0EEEJSt4plusIS8_EPS8_S8_EEEvT_T0_DpT1_.num_agpr, 0
	.set _ZN2at6native12_GLOBAL__N_125multi_tensor_apply_kernelINS1_18TensorListMetadataILi1EEENS1_27BinaryOpScalarTensorFunctorIN3c107complexIdEELi1ELi1ELi0EEEJSt4plusIS8_EPS8_S8_EEEvT_T0_DpT1_.numbered_sgpr, 31
	.set _ZN2at6native12_GLOBAL__N_125multi_tensor_apply_kernelINS1_18TensorListMetadataILi1EEENS1_27BinaryOpScalarTensorFunctorIN3c107complexIdEELi1ELi1ELi0EEEJSt4plusIS8_EPS8_S8_EEEvT_T0_DpT1_.num_named_barrier, 0
	.set _ZN2at6native12_GLOBAL__N_125multi_tensor_apply_kernelINS1_18TensorListMetadataILi1EEENS1_27BinaryOpScalarTensorFunctorIN3c107complexIdEELi1ELi1ELi0EEEJSt4plusIS8_EPS8_S8_EEEvT_T0_DpT1_.private_seg_size, 0
	.set _ZN2at6native12_GLOBAL__N_125multi_tensor_apply_kernelINS1_18TensorListMetadataILi1EEENS1_27BinaryOpScalarTensorFunctorIN3c107complexIdEELi1ELi1ELi0EEEJSt4plusIS8_EPS8_S8_EEEvT_T0_DpT1_.uses_vcc, 1
	.set _ZN2at6native12_GLOBAL__N_125multi_tensor_apply_kernelINS1_18TensorListMetadataILi1EEENS1_27BinaryOpScalarTensorFunctorIN3c107complexIdEELi1ELi1ELi0EEEJSt4plusIS8_EPS8_S8_EEEvT_T0_DpT1_.uses_flat_scratch, 0
	.set _ZN2at6native12_GLOBAL__N_125multi_tensor_apply_kernelINS1_18TensorListMetadataILi1EEENS1_27BinaryOpScalarTensorFunctorIN3c107complexIdEELi1ELi1ELi0EEEJSt4plusIS8_EPS8_S8_EEEvT_T0_DpT1_.has_dyn_sized_stack, 0
	.set _ZN2at6native12_GLOBAL__N_125multi_tensor_apply_kernelINS1_18TensorListMetadataILi1EEENS1_27BinaryOpScalarTensorFunctorIN3c107complexIdEELi1ELi1ELi0EEEJSt4plusIS8_EPS8_S8_EEEvT_T0_DpT1_.has_recursion, 0
	.set _ZN2at6native12_GLOBAL__N_125multi_tensor_apply_kernelINS1_18TensorListMetadataILi1EEENS1_27BinaryOpScalarTensorFunctorIN3c107complexIdEELi1ELi1ELi0EEEJSt4plusIS8_EPS8_S8_EEEvT_T0_DpT1_.has_indirect_call, 0
	.section	.AMDGPU.csdata,"",@progbits
; Kernel info:
; codeLenInByte = 1532
; TotalNumSgprs: 33
; NumVgprs: 38
; ScratchSize: 0
; MemoryBound: 1
; FloatMode: 240
; IeeeMode: 1
; LDSByteSize: 0 bytes/workgroup (compile time only)
; SGPRBlocks: 0
; VGPRBlocks: 4
; NumSGPRsForWavesPerEU: 33
; NumVGPRsForWavesPerEU: 38
; Occupancy: 16
; WaveLimiterHint : 0
; COMPUTE_PGM_RSRC2:SCRATCH_EN: 0
; COMPUTE_PGM_RSRC2:USER_SGPR: 2
; COMPUTE_PGM_RSRC2:TRAP_HANDLER: 0
; COMPUTE_PGM_RSRC2:TGID_X_EN: 1
; COMPUTE_PGM_RSRC2:TGID_Y_EN: 0
; COMPUTE_PGM_RSRC2:TGID_Z_EN: 0
; COMPUTE_PGM_RSRC2:TIDIG_COMP_CNT: 0
	.section	.text._ZN2at6native12_GLOBAL__N_125multi_tensor_apply_kernelINS1_18TensorListMetadataILi1EEENS1_27BinaryOpScalarTensorFunctorIN3c107complexIfEELi1ELi1ELi0EEEJSt4plusIS8_EPS8_S8_EEEvT_T0_DpT1_,"axG",@progbits,_ZN2at6native12_GLOBAL__N_125multi_tensor_apply_kernelINS1_18TensorListMetadataILi1EEENS1_27BinaryOpScalarTensorFunctorIN3c107complexIfEELi1ELi1ELi0EEEJSt4plusIS8_EPS8_S8_EEEvT_T0_DpT1_,comdat
	.globl	_ZN2at6native12_GLOBAL__N_125multi_tensor_apply_kernelINS1_18TensorListMetadataILi1EEENS1_27BinaryOpScalarTensorFunctorIN3c107complexIfEELi1ELi1ELi0EEEJSt4plusIS8_EPS8_S8_EEEvT_T0_DpT1_ ; -- Begin function _ZN2at6native12_GLOBAL__N_125multi_tensor_apply_kernelINS1_18TensorListMetadataILi1EEENS1_27BinaryOpScalarTensorFunctorIN3c107complexIfEELi1ELi1ELi0EEEJSt4plusIS8_EPS8_S8_EEEvT_T0_DpT1_
	.p2align	8
	.type	_ZN2at6native12_GLOBAL__N_125multi_tensor_apply_kernelINS1_18TensorListMetadataILi1EEENS1_27BinaryOpScalarTensorFunctorIN3c107complexIfEELi1ELi1ELi0EEEJSt4plusIS8_EPS8_S8_EEEvT_T0_DpT1_,@function
_ZN2at6native12_GLOBAL__N_125multi_tensor_apply_kernelINS1_18TensorListMetadataILi1EEENS1_27BinaryOpScalarTensorFunctorIN3c107complexIfEELi1ELi1ELi0EEEJSt4plusIS8_EPS8_S8_EEEvT_T0_DpT1_: ; @_ZN2at6native12_GLOBAL__N_125multi_tensor_apply_kernelINS1_18TensorListMetadataILi1EEENS1_27BinaryOpScalarTensorFunctorIN3c107complexIfEELi1ELi1ELi0EEEJSt4plusIS8_EPS8_S8_EEEvT_T0_DpT1_
; %bb.0:
	s_mov_b32 s2, ttmp9
	s_mov_b32 s3, 0
	s_delay_alu instid0(SALU_CYCLE_1)
	s_mul_u64 s[4:5], s[2:3], 3
	s_add_nc_u64 s[6:7], s[0:1], s[2:3]
	s_mov_b32 s19, s3
	s_add_nc_u64 s[4:5], s[6:7], s[4:5]
	s_clause 0x1
	s_load_b32 s4, s[4:5], 0x820
	s_load_u8 s2, s[0:1], ttmp9 offset:0x6e0
	s_wait_kmcnt 0x0
	s_ashr_i32 s5, s4, 31
	s_lshl_b32 s2, s2, 3
	s_clause 0x2
	s_load_b64 s[6:7], s[0:1], s2 offset:0x0
	s_load_b64 s[14:15], s[0:1], s2 offset:0x370
	s_load_b128 s[8:11], s[0:1], 0xd30
	s_lshl_b64 s[12:13], s[4:5], 19
	s_lshl_b64 s[4:5], s[4:5], 16
	s_wait_kmcnt 0x0
	s_add_nc_u64 s[16:17], s[6:7], s[12:13]
	s_and_b32 s18, s14, 3
	s_and_b32 s2, s16, 31
	s_sub_nc_u64 s[14:15], s[14:15], s[4:5]
	s_or_b64 s[2:3], s[2:3], s[18:19]
	s_delay_alu instid0(SALU_CYCLE_1)
	s_cmp_eq_u64 s[2:3], 0
	s_cbranch_scc1 .LBB8_21
; %bb.1:
	v_cmp_lt_i64_e64 s2, s[14:15], 1
	s_and_b32 vcc_lo, exec_lo, s2
	s_cbranch_vccnz .LBB8_20
; %bb.2:
	s_load_b32 s2, s[0:1], 0xd4c
	v_cmp_gt_i64_e64 s3, 0x10000, s[14:15]
	v_cmp_gt_u64_e64 s4, 0x10000, s[14:15]
	v_dual_mov_b32 v2, 0 :: v_dual_lshlrev_b32 v1, 3, v0
	s_mov_b32 s19, 0
	s_mov_b64 s[26:27], 0
	s_and_b32 s3, s3, exec_lo
	s_cselect_b32 s21, s15, 0
	s_cselect_b32 s20, s14, 0x10000
	s_mov_b32 s25, s19
	s_wait_kmcnt 0x0
	s_and_b32 s2, s2, 0xffff
	s_and_b32 s3, s4, exec_lo
	s_mul_i32 s4, s2, 3
	s_cselect_b32 s23, s15, 0
	s_cselect_b32 s22, s14, 0x10000
	s_lshl_b32 s5, s2, 4
	v_add_co_u32 v13, s4, s4, v0
	s_wait_alu 0xf1ff
	v_add_co_ci_u32_e64 v14, null, 0, 0, s4
	v_add_co_u32 v5, s4, s5, v1
	v_add_co_u32 v15, s5, v0, s2
	s_lshl_b32 s3, s2, 1
	v_mad_co_u64_u32 v[3:4], null, s2, 24, v[1:2]
	s_wait_alu 0xfffe
	v_add_co_u32 v19, s3, s3, v0
	v_add_co_ci_u32_e64 v16, null, 0, 0, s5
	v_add_co_ci_u32_e64 v17, null, 0, 0, s4
	v_or_b32_e32 v18, 4, v5
	s_wait_alu 0xf1ff
	v_add_co_ci_u32_e64 v20, null, 0, 0, s3
	v_lshl_or_b32 v21, v15, 3, 4
	s_lshl_b32 s18, s2, 2
	s_lshl_b32 s24, s2, 5
	s_branch .LBB8_4
.LBB8_3:                                ;   in Loop: Header=BB8_4 Depth=1
	s_wait_alu 0xfffe
	s_or_b32 exec_lo, exec_lo, s2
	s_add_nc_u64 s[26:27], s[26:27], s[18:19]
	s_add_nc_u64 s[16:17], s[16:17], s[24:25]
	s_wait_alu 0xfffe
	v_cmp_lt_i64_e64 s2, s[26:27], s[20:21]
	s_and_b32 vcc_lo, exec_lo, s2
	s_wait_alu 0xfffe
	s_cbranch_vccz .LBB8_20
.LBB8_4:                                ; =>This Inner Loop Header: Depth=1
	v_add_co_u32 v5, s2, v0, s26
	s_wait_alu 0xf1ff
	v_add_co_ci_u32_e64 v6, null, 0, s27, s2
	v_dual_mov_b32 v8, 0 :: v_dual_mov_b32 v7, 0
	s_delay_alu instid0(VALU_DEP_2)
	v_cmp_gt_u64_e32 vcc_lo, s[22:23], v[5:6]
	s_and_saveexec_b32 s2, vcc_lo
	s_cbranch_execz .LBB8_6
; %bb.5:                                ;   in Loop: Header=BB8_4 Depth=1
	v_add_co_u32 v5, s3, s16, v1
	s_wait_alu 0xf1ff
	v_add_co_ci_u32_e64 v6, null, s17, 0, s3
	global_load_b64 v[7:8], v[5:6], off
.LBB8_6:                                ;   in Loop: Header=BB8_4 Depth=1
	s_wait_alu 0xfffe
	s_or_b32 exec_lo, exec_lo, s2
	v_add_co_u32 v9, s2, v15, s26
	s_wait_alu 0xf1ff
	v_add_co_ci_u32_e64 v10, null, s27, v16, s2
	v_mov_b32_e32 v6, 0
	s_delay_alu instid0(VALU_DEP_2)
	v_cmp_gt_u64_e64 s2, s[22:23], v[9:10]
	v_dual_mov_b32 v10, 0 :: v_dual_mov_b32 v9, 0
	s_and_saveexec_b32 s3, s2
	s_cbranch_execz .LBB8_8
; %bb.7:                                ;   in Loop: Header=BB8_4 Depth=1
	v_add_co_u32 v9, s4, s16, v21
	s_wait_alu 0xf1ff
	v_add_co_ci_u32_e64 v10, null, s17, 0, s4
	global_load_b64 v[9:10], v[9:10], off offset:-4
.LBB8_8:                                ;   in Loop: Header=BB8_4 Depth=1
	s_wait_alu 0xfffe
	s_or_b32 exec_lo, exec_lo, s3
	v_add_co_u32 v11, s3, v19, s26
	s_wait_alu 0xf1ff
	v_add_co_ci_u32_e64 v12, null, s27, v20, s3
	v_mov_b32_e32 v5, 0
	s_delay_alu instid0(VALU_DEP_2)
	v_cmp_gt_u64_e64 s3, s[22:23], v[11:12]
	s_and_saveexec_b32 s5, s3
	s_cbranch_execz .LBB8_10
; %bb.9:                                ;   in Loop: Header=BB8_4 Depth=1
	v_add_co_u32 v5, s4, s16, v18
	s_wait_alu 0xf1ff
	v_add_co_ci_u32_e64 v6, null, s17, v17, s4
	global_load_b64 v[5:6], v[5:6], off offset:-4
.LBB8_10:                               ;   in Loop: Header=BB8_4 Depth=1
	s_wait_alu 0xfffe
	s_or_b32 exec_lo, exec_lo, s5
	v_add_co_u32 v11, s4, v13, s26
	s_wait_alu 0xf1ff
	v_add_co_ci_u32_e64 v12, null, s27, v14, s4
	s_delay_alu instid0(VALU_DEP_1)
	v_cmp_gt_u64_e64 s4, s[22:23], v[11:12]
	v_mov_b32_e32 v11, 0
	v_mov_b32_e32 v12, 0
	s_and_saveexec_b32 s28, s4
	s_cbranch_execz .LBB8_12
; %bb.11:                               ;   in Loop: Header=BB8_4 Depth=1
	v_add_co_u32 v11, s5, s16, v3
	s_wait_alu 0xf1ff
	v_add_co_ci_u32_e64 v12, null, s17, v4, s5
	global_load_b64 v[11:12], v[11:12], off
.LBB8_12:                               ;   in Loop: Header=BB8_4 Depth=1
	s_wait_alu 0xfffe
	s_or_b32 exec_lo, exec_lo, s28
	global_load_b64 v[24:25], v2, s[8:9]
	s_wait_loadcnt 0x0
	v_mul_f32_e32 v23, s10, v25
	s_delay_alu instid0(VALU_DEP_1) | instskip(NEXT) | instid1(VALU_DEP_1)
	v_dual_mul_f32 v22, s11, v25 :: v_dual_fmac_f32 v23, s11, v24
	v_xor_b32_e32 v22, 0x80000000, v22
	s_delay_alu instid0(VALU_DEP_1)
	v_fmac_f32_e32 v22, s10, v24
	s_and_saveexec_b32 s5, vcc_lo
	s_cbranch_execnz .LBB8_16
; %bb.13:                               ;   in Loop: Header=BB8_4 Depth=1
	s_wait_alu 0xfffe
	s_or_b32 exec_lo, exec_lo, s5
	s_and_saveexec_b32 s5, s2
	s_cbranch_execnz .LBB8_17
.LBB8_14:                               ;   in Loop: Header=BB8_4 Depth=1
	s_wait_alu 0xfffe
	s_or_b32 exec_lo, exec_lo, s5
	s_and_saveexec_b32 s2, s3
	s_cbranch_execnz .LBB8_18
.LBB8_15:                               ;   in Loop: Header=BB8_4 Depth=1
	s_wait_alu 0xfffe
	s_or_b32 exec_lo, exec_lo, s2
	s_and_saveexec_b32 s2, s4
	s_cbranch_execz .LBB8_3
	s_branch .LBB8_19
.LBB8_16:                               ;   in Loop: Header=BB8_4 Depth=1
	v_add_co_u32 v24, s28, s16, v1
	s_wait_alu 0xf1ff
	v_add_co_ci_u32_e64 v25, null, s17, 0, s28
	v_dual_add_f32 v7, v7, v22 :: v_dual_add_f32 v8, v8, v23
	global_store_b64 v[24:25], v[7:8], off
	s_wait_alu 0xfffe
	s_or_b32 exec_lo, exec_lo, s5
	s_and_saveexec_b32 s5, s2
	s_cbranch_execz .LBB8_14
.LBB8_17:                               ;   in Loop: Header=BB8_4 Depth=1
	v_dual_add_f32 v7, v9, v22 :: v_dual_add_f32 v8, v10, v23
	v_add_co_u32 v9, s2, s16, v21
	s_wait_alu 0xf1ff
	v_add_co_ci_u32_e64 v10, null, s17, 0, s2
	global_store_b64 v[9:10], v[7:8], off offset:-4
	s_wait_alu 0xfffe
	s_or_b32 exec_lo, exec_lo, s5
	s_and_saveexec_b32 s2, s3
	s_cbranch_execz .LBB8_15
.LBB8_18:                               ;   in Loop: Header=BB8_4 Depth=1
	v_add_co_u32 v7, vcc_lo, s16, v18
	v_dual_add_f32 v5, v5, v22 :: v_dual_add_f32 v6, v6, v23
	s_wait_alu 0xfffd
	v_add_co_ci_u32_e64 v8, null, s17, v17, vcc_lo
	global_store_b64 v[7:8], v[5:6], off offset:-4
	s_wait_alu 0xfffe
	s_or_b32 exec_lo, exec_lo, s2
	s_and_saveexec_b32 s2, s4
	s_cbranch_execz .LBB8_3
.LBB8_19:                               ;   in Loop: Header=BB8_4 Depth=1
	v_add_co_u32 v7, vcc_lo, s16, v3
	v_dual_add_f32 v5, v22, v11 :: v_dual_add_f32 v6, v23, v12
	s_wait_alu 0xfffd
	v_add_co_ci_u32_e64 v8, null, s17, v4, vcc_lo
	global_store_b64 v[7:8], v[5:6], off
	s_branch .LBB8_3
.LBB8_20:
	s_cbranch_execz .LBB8_22
	s_branch .LBB8_25
.LBB8_21:
.LBB8_22:
	v_cmp_gt_i64_e64 s2, 0x10000, s[14:15]
	v_dual_mov_b32 v2, 0 :: v_dual_lshlrev_b32 v1, 2, v0
	s_mov_b32 s4, 0
	s_mov_b32 s5, exec_lo
	s_and_b32 s2, s2, exec_lo
	s_cselect_b32 s3, s15, 0
	s_cselect_b32 s2, s14, 0x10000
	s_wait_alu 0xfffe
	v_cmpx_gt_i64_e64 s[2:3], v[1:2]
	s_cbranch_execz .LBB8_25
; %bb.23:
	s_load_b32 s5, s[0:1], 0xd4c
	v_lshlrev_b32_e32 v3, 5, v0
	s_add_nc_u64 s[0:1], s[6:7], s[12:13]
	v_mov_b32_e32 v1, v2
	s_delay_alu instid0(VALU_DEP_2)
	v_add_co_u32 v3, s0, s0, v3
	s_wait_alu 0xf1ff
	v_add_co_ci_u32_e64 v4, null, s1, 0, s0
	s_wait_kmcnt 0x0
	s_and_b32 s1, s5, 0xffff
	s_wait_alu 0xfffe
	s_lshl_b32 s5, s1, 5
.LBB8_24:                               ; =>This Inner Loop Header: Depth=1
	global_load_b64 v[13:14], v2, s[8:9]
	s_clause 0x1
	global_load_b128 v[5:8], v[3:4], off
	global_load_b128 v[9:12], v[3:4], off offset:16
	v_add_co_u32 v0, vcc_lo, v0, s1
	s_wait_alu 0xfffd
	v_add_co_ci_u32_e64 v1, null, 0, v1, vcc_lo
	s_delay_alu instid0(VALU_DEP_1) | instskip(NEXT) | instid1(VALU_DEP_1)
	v_lshlrev_b64_e32 v[15:16], 2, v[0:1]
	v_cmp_le_i64_e32 vcc_lo, s[2:3], v[15:16]
	s_or_b32 s4, vcc_lo, s4
	s_wait_loadcnt 0x2
	v_mul_f32_e32 v15, s11, v14
	v_mul_f32_e32 v14, s10, v14
	s_delay_alu instid0(VALU_DEP_1) | instskip(NEXT) | instid1(VALU_DEP_3)
	v_fmac_f32_e32 v14, s11, v13
	v_xor_b32_e32 v15, 0x80000000, v15
	s_wait_loadcnt 0x1
	s_delay_alu instid0(VALU_DEP_1) | instskip(SKIP_3) | instid1(VALU_DEP_3)
	v_dual_fmac_f32 v15, s10, v13 :: v_dual_add_f32 v6, v6, v14
	v_add_f32_e32 v8, v8, v14
	s_wait_loadcnt 0x0
	v_add_f32_e32 v10, v10, v14
	v_dual_add_f32 v12, v12, v14 :: v_dual_add_f32 v11, v11, v15
	v_add_f32_e32 v5, v5, v15
	v_add_f32_e32 v7, v7, v15
	;; [unrolled: 1-line block ×3, first 2 shown]
	s_clause 0x1
	global_store_b128 v[3:4], v[5:8], off
	global_store_b128 v[3:4], v[9:12], off offset:16
	s_wait_alu 0xfffe
	v_add_co_u32 v3, s0, v3, s5
	s_wait_alu 0xf1ff
	v_add_co_ci_u32_e64 v4, null, 0, v4, s0
	s_and_not1_b32 exec_lo, exec_lo, s4
	s_cbranch_execnz .LBB8_24
.LBB8_25:
	s_endpgm
	.section	.rodata,"a",@progbits
	.p2align	6, 0x0
	.amdhsa_kernel _ZN2at6native12_GLOBAL__N_125multi_tensor_apply_kernelINS1_18TensorListMetadataILi1EEENS1_27BinaryOpScalarTensorFunctorIN3c107complexIfEELi1ELi1ELi0EEEJSt4plusIS8_EPS8_S8_EEEvT_T0_DpT1_
		.amdhsa_group_segment_fixed_size 0
		.amdhsa_private_segment_fixed_size 0
		.amdhsa_kernarg_size 3648
		.amdhsa_user_sgpr_count 2
		.amdhsa_user_sgpr_dispatch_ptr 0
		.amdhsa_user_sgpr_queue_ptr 0
		.amdhsa_user_sgpr_kernarg_segment_ptr 1
		.amdhsa_user_sgpr_dispatch_id 0
		.amdhsa_user_sgpr_private_segment_size 0
		.amdhsa_wavefront_size32 1
		.amdhsa_uses_dynamic_stack 0
		.amdhsa_enable_private_segment 0
		.amdhsa_system_sgpr_workgroup_id_x 1
		.amdhsa_system_sgpr_workgroup_id_y 0
		.amdhsa_system_sgpr_workgroup_id_z 0
		.amdhsa_system_sgpr_workgroup_info 0
		.amdhsa_system_vgpr_workitem_id 0
		.amdhsa_next_free_vgpr 26
		.amdhsa_next_free_sgpr 29
		.amdhsa_reserve_vcc 1
		.amdhsa_float_round_mode_32 0
		.amdhsa_float_round_mode_16_64 0
		.amdhsa_float_denorm_mode_32 3
		.amdhsa_float_denorm_mode_16_64 3
		.amdhsa_fp16_overflow 0
		.amdhsa_workgroup_processor_mode 1
		.amdhsa_memory_ordered 1
		.amdhsa_forward_progress 1
		.amdhsa_inst_pref_size 12
		.amdhsa_round_robin_scheduling 0
		.amdhsa_exception_fp_ieee_invalid_op 0
		.amdhsa_exception_fp_denorm_src 0
		.amdhsa_exception_fp_ieee_div_zero 0
		.amdhsa_exception_fp_ieee_overflow 0
		.amdhsa_exception_fp_ieee_underflow 0
		.amdhsa_exception_fp_ieee_inexact 0
		.amdhsa_exception_int_div_zero 0
	.end_amdhsa_kernel
	.section	.text._ZN2at6native12_GLOBAL__N_125multi_tensor_apply_kernelINS1_18TensorListMetadataILi1EEENS1_27BinaryOpScalarTensorFunctorIN3c107complexIfEELi1ELi1ELi0EEEJSt4plusIS8_EPS8_S8_EEEvT_T0_DpT1_,"axG",@progbits,_ZN2at6native12_GLOBAL__N_125multi_tensor_apply_kernelINS1_18TensorListMetadataILi1EEENS1_27BinaryOpScalarTensorFunctorIN3c107complexIfEELi1ELi1ELi0EEEJSt4plusIS8_EPS8_S8_EEEvT_T0_DpT1_,comdat
.Lfunc_end8:
	.size	_ZN2at6native12_GLOBAL__N_125multi_tensor_apply_kernelINS1_18TensorListMetadataILi1EEENS1_27BinaryOpScalarTensorFunctorIN3c107complexIfEELi1ELi1ELi0EEEJSt4plusIS8_EPS8_S8_EEEvT_T0_DpT1_, .Lfunc_end8-_ZN2at6native12_GLOBAL__N_125multi_tensor_apply_kernelINS1_18TensorListMetadataILi1EEENS1_27BinaryOpScalarTensorFunctorIN3c107complexIfEELi1ELi1ELi0EEEJSt4plusIS8_EPS8_S8_EEEvT_T0_DpT1_
                                        ; -- End function
	.set _ZN2at6native12_GLOBAL__N_125multi_tensor_apply_kernelINS1_18TensorListMetadataILi1EEENS1_27BinaryOpScalarTensorFunctorIN3c107complexIfEELi1ELi1ELi0EEEJSt4plusIS8_EPS8_S8_EEEvT_T0_DpT1_.num_vgpr, 26
	.set _ZN2at6native12_GLOBAL__N_125multi_tensor_apply_kernelINS1_18TensorListMetadataILi1EEENS1_27BinaryOpScalarTensorFunctorIN3c107complexIfEELi1ELi1ELi0EEEJSt4plusIS8_EPS8_S8_EEEvT_T0_DpT1_.num_agpr, 0
	.set _ZN2at6native12_GLOBAL__N_125multi_tensor_apply_kernelINS1_18TensorListMetadataILi1EEENS1_27BinaryOpScalarTensorFunctorIN3c107complexIfEELi1ELi1ELi0EEEJSt4plusIS8_EPS8_S8_EEEvT_T0_DpT1_.numbered_sgpr, 29
	.set _ZN2at6native12_GLOBAL__N_125multi_tensor_apply_kernelINS1_18TensorListMetadataILi1EEENS1_27BinaryOpScalarTensorFunctorIN3c107complexIfEELi1ELi1ELi0EEEJSt4plusIS8_EPS8_S8_EEEvT_T0_DpT1_.num_named_barrier, 0
	.set _ZN2at6native12_GLOBAL__N_125multi_tensor_apply_kernelINS1_18TensorListMetadataILi1EEENS1_27BinaryOpScalarTensorFunctorIN3c107complexIfEELi1ELi1ELi0EEEJSt4plusIS8_EPS8_S8_EEEvT_T0_DpT1_.private_seg_size, 0
	.set _ZN2at6native12_GLOBAL__N_125multi_tensor_apply_kernelINS1_18TensorListMetadataILi1EEENS1_27BinaryOpScalarTensorFunctorIN3c107complexIfEELi1ELi1ELi0EEEJSt4plusIS8_EPS8_S8_EEEvT_T0_DpT1_.uses_vcc, 1
	.set _ZN2at6native12_GLOBAL__N_125multi_tensor_apply_kernelINS1_18TensorListMetadataILi1EEENS1_27BinaryOpScalarTensorFunctorIN3c107complexIfEELi1ELi1ELi0EEEJSt4plusIS8_EPS8_S8_EEEvT_T0_DpT1_.uses_flat_scratch, 0
	.set _ZN2at6native12_GLOBAL__N_125multi_tensor_apply_kernelINS1_18TensorListMetadataILi1EEENS1_27BinaryOpScalarTensorFunctorIN3c107complexIfEELi1ELi1ELi0EEEJSt4plusIS8_EPS8_S8_EEEvT_T0_DpT1_.has_dyn_sized_stack, 0
	.set _ZN2at6native12_GLOBAL__N_125multi_tensor_apply_kernelINS1_18TensorListMetadataILi1EEENS1_27BinaryOpScalarTensorFunctorIN3c107complexIfEELi1ELi1ELi0EEEJSt4plusIS8_EPS8_S8_EEEvT_T0_DpT1_.has_recursion, 0
	.set _ZN2at6native12_GLOBAL__N_125multi_tensor_apply_kernelINS1_18TensorListMetadataILi1EEENS1_27BinaryOpScalarTensorFunctorIN3c107complexIfEELi1ELi1ELi0EEEJSt4plusIS8_EPS8_S8_EEEvT_T0_DpT1_.has_indirect_call, 0
	.section	.AMDGPU.csdata,"",@progbits
; Kernel info:
; codeLenInByte = 1420
; TotalNumSgprs: 31
; NumVgprs: 26
; ScratchSize: 0
; MemoryBound: 0
; FloatMode: 240
; IeeeMode: 1
; LDSByteSize: 0 bytes/workgroup (compile time only)
; SGPRBlocks: 0
; VGPRBlocks: 3
; NumSGPRsForWavesPerEU: 31
; NumVGPRsForWavesPerEU: 26
; Occupancy: 16
; WaveLimiterHint : 0
; COMPUTE_PGM_RSRC2:SCRATCH_EN: 0
; COMPUTE_PGM_RSRC2:USER_SGPR: 2
; COMPUTE_PGM_RSRC2:TRAP_HANDLER: 0
; COMPUTE_PGM_RSRC2:TGID_X_EN: 1
; COMPUTE_PGM_RSRC2:TGID_Y_EN: 0
; COMPUTE_PGM_RSRC2:TGID_Z_EN: 0
; COMPUTE_PGM_RSRC2:TIDIG_COMP_CNT: 0
	.section	.text._ZN2at6native12_GLOBAL__N_125multi_tensor_apply_kernelINS1_18TensorListMetadataILi1EEENS1_27BinaryOpScalarTensorFunctorIbLi1ELi1ELi0EEEJSt4plusIbEPbbEEEvT_T0_DpT1_,"axG",@progbits,_ZN2at6native12_GLOBAL__N_125multi_tensor_apply_kernelINS1_18TensorListMetadataILi1EEENS1_27BinaryOpScalarTensorFunctorIbLi1ELi1ELi0EEEJSt4plusIbEPbbEEEvT_T0_DpT1_,comdat
	.globl	_ZN2at6native12_GLOBAL__N_125multi_tensor_apply_kernelINS1_18TensorListMetadataILi1EEENS1_27BinaryOpScalarTensorFunctorIbLi1ELi1ELi0EEEJSt4plusIbEPbbEEEvT_T0_DpT1_ ; -- Begin function _ZN2at6native12_GLOBAL__N_125multi_tensor_apply_kernelINS1_18TensorListMetadataILi1EEENS1_27BinaryOpScalarTensorFunctorIbLi1ELi1ELi0EEEJSt4plusIbEPbbEEEvT_T0_DpT1_
	.p2align	8
	.type	_ZN2at6native12_GLOBAL__N_125multi_tensor_apply_kernelINS1_18TensorListMetadataILi1EEENS1_27BinaryOpScalarTensorFunctorIbLi1ELi1ELi0EEEJSt4plusIbEPbbEEEvT_T0_DpT1_,@function
_ZN2at6native12_GLOBAL__N_125multi_tensor_apply_kernelINS1_18TensorListMetadataILi1EEENS1_27BinaryOpScalarTensorFunctorIbLi1ELi1ELi0EEEJSt4plusIbEPbbEEEvT_T0_DpT1_: ; @_ZN2at6native12_GLOBAL__N_125multi_tensor_apply_kernelINS1_18TensorListMetadataILi1EEENS1_27BinaryOpScalarTensorFunctorIbLi1ELi1ELi0EEEJSt4plusIbEPbbEEEvT_T0_DpT1_
; %bb.0:
	s_clause 0x1
	s_load_b96 s[8:10], s[0:1], 0xd30
	s_load_u8 s6, s[0:1], ttmp9 offset:0x6e0
	s_mov_b32 s2, ttmp9
	s_mov_b32 s3, 0
	s_delay_alu instid0(SALU_CYCLE_1) | instskip(SKIP_1) | instid1(SALU_CYCLE_1)
	s_mul_u64 s[4:5], s[2:3], 3
	s_add_nc_u64 s[2:3], s[0:1], s[2:3]
	s_add_nc_u64 s[2:3], s[2:3], s[4:5]
	s_wait_kmcnt 0x0
	s_bitcmp1_b32 s10, 0
	s_cselect_b32 s22, -1, 0
	s_lshl_b32 s6, s6, 3
	s_clause 0x2
	s_load_b64 s[4:5], s[0:1], s6 offset:0x370
	s_load_b64 s[6:7], s[0:1], s6 offset:0x0
	s_load_b32 s2, s[2:3], 0x820
	s_wait_kmcnt 0x0
	s_or_b32 s10, s4, s6
	s_ashr_i32 s3, s2, 31
	s_and_b32 s12, s10, 3
	s_lshl_b64 s[10:11], s[2:3], 16
	s_cmp_eq_u32 s12, 0
	s_sub_nc_u64 s[12:13], s[4:5], s[10:11]
	s_cbranch_scc1 .LBB9_21
; %bb.1:
	v_cmp_lt_i64_e64 s2, s[12:13], 1
	s_and_b32 vcc_lo, exec_lo, s2
	s_cbranch_vccnz .LBB9_20
; %bb.2:
	s_load_b32 s2, s[0:1], 0xd4c
	v_cmp_gt_i64_e64 s4, 0x10000, s[12:13]
	s_mov_b32 s19, 0
	v_cmp_gt_u64_e64 s16, 0x10000, s[12:13]
	s_mov_b32 s5, s19
	v_add_co_u32 v12, s3, s10, v0
	s_and_b32 s4, s4, exec_lo
	s_cselect_b32 s15, s13, 0
	s_cselect_b32 s14, s12, 0x10000
	v_add_co_ci_u32_e64 v13, null, s11, 0, s3
	s_mov_b32 s3, s19
	v_add_co_u32 v2, vcc_lo, s6, v12
	s_delay_alu instid0(VALU_DEP_1)
	v_add_co_ci_u32_e64 v3, null, s7, v13, vcc_lo
	v_mov_b32_e32 v1, 0
	s_wait_kmcnt 0x0
	s_and_b32 s18, s2, 0xffff
	s_and_b32 s2, s16, exec_lo
	s_mul_i32 s4, s18, 3
	s_cselect_b32 s17, s13, 0
	s_add_nc_u64 s[20:21], s[10:11], s[4:5]
	s_cselect_b32 s16, s12, 0x10000
	s_add_nc_u64 s[20:21], s[6:7], s[20:21]
	s_lshl_b32 s2, s18, 1
	v_add_co_u32 v4, s5, s20, v0
	s_delay_alu instid0(VALU_DEP_1)
	v_add_co_ci_u32_e64 v5, null, s21, 0, s5
	s_wait_alu 0xfffe
	s_add_nc_u64 s[20:21], s[10:11], s[2:3]
	v_add_co_u32 v6, s3, s4, v0
	s_wait_alu 0xfffe
	s_add_nc_u64 s[4:5], s[6:7], s[20:21]
	v_add_co_ci_u32_e64 v7, null, 0, 0, s3
	s_wait_alu 0xfffe
	v_add_co_u32 v8, s3, s4, v0
	v_add_co_u32 v10, s2, s2, v0
	s_wait_alu 0xf1ff
	v_add_co_ci_u32_e64 v9, null, s5, 0, s3
	v_add_co_ci_u32_e64 v11, null, 0, 0, s2
	s_add_nc_u64 s[2:3], s[6:7], s[18:19]
	s_mov_b64 s[20:21], 0
	s_wait_alu 0xfffe
	v_add_co_u32 v12, vcc_lo, s2, v12
	v_add_co_u32 v14, s2, v0, s18
	s_wait_alu 0xfffd
	v_add_co_ci_u32_e64 v13, null, s3, v13, vcc_lo
	s_wait_alu 0xf1ff
	v_add_co_ci_u32_e64 v15, null, 0, 0, s2
	s_lshl_b32 s18, s18, 2
	s_branch .LBB9_4
.LBB9_3:                                ;   in Loop: Header=BB9_4 Depth=1
	s_wait_alu 0xfffe
	s_or_b32 exec_lo, exec_lo, s2
	s_add_nc_u64 s[20:21], s[20:21], s[18:19]
	s_wait_alu 0xfffe
	v_cmp_lt_i64_e64 s2, s[20:21], s[14:15]
	s_and_b32 vcc_lo, exec_lo, s2
	s_wait_alu 0xfffe
	s_cbranch_vccz .LBB9_20
.LBB9_4:                                ; =>This Inner Loop Header: Depth=1
	v_add_co_u32 v16, s2, v0, s20
	s_wait_alu 0xf1ff
	v_add_co_ci_u32_e64 v17, null, 0, s21, s2
	s_delay_alu instid0(VALU_DEP_1)
	v_cmp_gt_u64_e32 vcc_lo, s[16:17], v[16:17]
	v_mov_b32_e32 v17, 0
	s_and_saveexec_b32 s3, vcc_lo
	s_cbranch_execz .LBB9_6
; %bb.5:                                ;   in Loop: Header=BB9_4 Depth=1
	v_add_co_u32 v16, s2, v2, s20
	s_wait_alu 0xf1ff
	v_add_co_ci_u32_e64 v17, null, s21, v3, s2
	global_load_u8 v17, v[16:17], off
.LBB9_6:                                ;   in Loop: Header=BB9_4 Depth=1
	s_wait_alu 0xfffe
	s_or_b32 exec_lo, exec_lo, s3
	v_add_co_u32 v18, s2, v14, s20
	s_wait_alu 0xf1ff
	v_add_co_ci_u32_e64 v19, null, s21, v15, s2
	v_mov_b32_e32 v16, 0
	s_delay_alu instid0(VALU_DEP_2)
	v_cmp_gt_u64_e64 s2, s[16:17], v[18:19]
	v_mov_b32_e32 v18, 0
	s_and_saveexec_b32 s4, s2
	s_cbranch_execz .LBB9_8
; %bb.7:                                ;   in Loop: Header=BB9_4 Depth=1
	v_add_co_u32 v18, s3, v12, s20
	s_wait_alu 0xf1ff
	v_add_co_ci_u32_e64 v19, null, s21, v13, s3
	global_load_u8 v18, v[18:19], off
.LBB9_8:                                ;   in Loop: Header=BB9_4 Depth=1
	s_wait_alu 0xfffe
	s_or_b32 exec_lo, exec_lo, s4
	v_add_co_u32 v19, s3, v10, s20
	s_wait_alu 0xf1ff
	v_add_co_ci_u32_e64 v20, null, s21, v11, s3
	s_delay_alu instid0(VALU_DEP_1)
	v_cmp_gt_u64_e64 s3, s[16:17], v[19:20]
	s_and_saveexec_b32 s5, s3
	s_cbranch_execz .LBB9_10
; %bb.9:                                ;   in Loop: Header=BB9_4 Depth=1
	v_add_co_u32 v19, s4, v8, s20
	s_wait_alu 0xf1ff
	v_add_co_ci_u32_e64 v20, null, s21, v9, s4
	global_load_u8 v16, v[19:20], off
.LBB9_10:                               ;   in Loop: Header=BB9_4 Depth=1
	s_wait_alu 0xfffe
	s_or_b32 exec_lo, exec_lo, s5
	v_add_co_u32 v19, s4, v6, s20
	s_wait_alu 0xf1ff
	v_add_co_ci_u32_e64 v20, null, s21, v7, s4
	s_delay_alu instid0(VALU_DEP_1)
	v_cmp_gt_u64_e64 s4, s[16:17], v[19:20]
	v_mov_b32_e32 v19, 0
	s_and_saveexec_b32 s23, s4
	s_cbranch_execz .LBB9_12
; %bb.11:                               ;   in Loop: Header=BB9_4 Depth=1
	v_add_co_u32 v19, s5, v4, s20
	s_wait_alu 0xf1ff
	v_add_co_ci_u32_e64 v20, null, s21, v5, s5
	global_load_u8 v19, v[19:20], off
.LBB9_12:                               ;   in Loop: Header=BB9_4 Depth=1
	s_or_b32 exec_lo, exec_lo, s23
	global_load_u8 v20, v1, s[8:9]
	s_wait_loadcnt 0x0
	v_cmp_ne_u32_e64 s5, 0, v20
	s_and_b32 s5, s22, s5
	s_wait_alu 0xfffe
	v_cndmask_b32_e64 v20, 0, 1, s5
	s_delay_alu instid0(VALU_DEP_1) | instskip(NEXT) | instid1(VALU_DEP_1)
	v_or_b32_e32 v17, v17, v20
	v_and_b32_e32 v17, 0xff, v17
	s_delay_alu instid0(VALU_DEP_1)
	v_cmp_ne_u16_e64 s5, 0, v17
	s_and_saveexec_b32 s23, vcc_lo
	s_cbranch_execz .LBB9_14
; %bb.13:                               ;   in Loop: Header=BB9_4 Depth=1
	v_add_co_u32 v21, vcc_lo, v2, s20
	s_wait_alu 0xf1ff
	v_cndmask_b32_e64 v17, 0, 1, s5
	s_wait_alu 0xfffd
	v_add_co_ci_u32_e64 v22, null, s21, v3, vcc_lo
	global_store_b8 v[21:22], v17, off
.LBB9_14:                               ;   in Loop: Header=BB9_4 Depth=1
	s_or_b32 exec_lo, exec_lo, s23
	v_or_b32_e32 v17, v18, v20
	s_delay_alu instid0(VALU_DEP_1) | instskip(NEXT) | instid1(VALU_DEP_1)
	v_and_b32_e32 v17, 0xff, v17
	v_cmp_ne_u16_e32 vcc_lo, 0, v17
	s_and_saveexec_b32 s5, s2
	s_cbranch_execz .LBB9_16
; %bb.15:                               ;   in Loop: Header=BB9_4 Depth=1
	s_wait_alu 0xfffd
	v_cndmask_b32_e64 v21, 0, 1, vcc_lo
	v_add_co_u32 v17, vcc_lo, v12, s20
	s_wait_alu 0xfffd
	v_add_co_ci_u32_e64 v18, null, s21, v13, vcc_lo
	global_store_b8 v[17:18], v21, off
.LBB9_16:                               ;   in Loop: Header=BB9_4 Depth=1
	s_wait_alu 0xfffe
	s_or_b32 exec_lo, exec_lo, s5
	v_or_b32_e32 v16, v16, v20
	s_delay_alu instid0(VALU_DEP_1) | instskip(NEXT) | instid1(VALU_DEP_1)
	v_and_b32_e32 v16, 0xff, v16
	v_cmp_ne_u16_e32 vcc_lo, 0, v16
	s_and_saveexec_b32 s2, s3
	s_cbranch_execz .LBB9_18
; %bb.17:                               ;   in Loop: Header=BB9_4 Depth=1
	s_wait_alu 0xfffd
	v_cndmask_b32_e64 v18, 0, 1, vcc_lo
	v_add_co_u32 v16, vcc_lo, v8, s20
	s_wait_alu 0xfffd
	v_add_co_ci_u32_e64 v17, null, s21, v9, vcc_lo
	global_store_b8 v[16:17], v18, off
.LBB9_18:                               ;   in Loop: Header=BB9_4 Depth=1
	s_wait_alu 0xfffe
	s_or_b32 exec_lo, exec_lo, s2
	v_or_b32_e32 v16, v19, v20
	s_delay_alu instid0(VALU_DEP_1) | instskip(NEXT) | instid1(VALU_DEP_1)
	v_and_b32_e32 v16, 0xff, v16
	v_cmp_ne_u16_e32 vcc_lo, 0, v16
	s_and_saveexec_b32 s2, s4
	s_cbranch_execz .LBB9_3
; %bb.19:                               ;   in Loop: Header=BB9_4 Depth=1
	s_wait_alu 0xfffd
	v_cndmask_b32_e64 v18, 0, 1, vcc_lo
	v_add_co_u32 v16, vcc_lo, v4, s20
	s_wait_alu 0xfffd
	v_add_co_ci_u32_e64 v17, null, s21, v5, vcc_lo
	global_store_b8 v[16:17], v18, off
	s_branch .LBB9_3
.LBB9_20:
	s_cbranch_execz .LBB9_22
	s_branch .LBB9_25
.LBB9_21:
.LBB9_22:
	v_cmp_gt_i64_e64 s2, 0x10000, s[12:13]
	v_dual_mov_b32 v3, 0 :: v_dual_lshlrev_b32 v2, 2, v0
	s_mov_b32 s4, 0
	s_mov_b32 s5, exec_lo
	s_and_b32 s2, s2, exec_lo
	s_cselect_b32 s3, s13, 0
	s_cselect_b32 s2, s12, 0x10000
	s_wait_alu 0xfffe
	v_cmpx_gt_i64_e64 s[2:3], v[2:3]
	s_cbranch_execz .LBB9_25
; %bb.23:
	s_load_b32 s5, s[0:1], 0xd4c
	s_add_nc_u64 s[0:1], s[6:7], s[10:11]
	v_mov_b32_e32 v1, v3
	v_add_co_u32 v4, s0, s0, v2
	s_wait_alu 0xf1ff
	v_add_co_ci_u32_e64 v5, null, s1, 0, s0
	s_wait_kmcnt 0x0
	s_and_b32 s1, s5, 0xffff
	s_wait_alu 0xfffe
	s_lshl_b32 s5, s1, 2
.LBB9_24:                               ; =>This Inner Loop Header: Depth=1
	global_load_u8 v2, v3, s[8:9]
	global_load_b32 v8, v[4:5], off
	v_add_co_u32 v0, vcc_lo, v0, s1
	s_wait_alu 0xfffd
	v_add_co_ci_u32_e64 v1, null, 0, v1, vcc_lo
	s_delay_alu instid0(VALU_DEP_1) | instskip(NEXT) | instid1(VALU_DEP_1)
	v_lshlrev_b64_e32 v[6:7], 2, v[0:1]
	v_cmp_le_i64_e32 vcc_lo, s[2:3], v[6:7]
	s_wait_loadcnt 0x1
	v_cmp_ne_u32_e64 s0, 0, v2
	s_wait_loadcnt 0x0
	v_lshrrev_b32_e32 v7, 24, v8
	v_lshrrev_b16 v2, 8, v8
	v_lshrrev_b32_e32 v6, 16, v8
	s_and_b32 s0, s22, s0
	s_or_b32 s4, vcc_lo, s4
	s_wait_alu 0xfffe
	v_cndmask_b32_e64 v9, 0, 1, s0
	s_delay_alu instid0(VALU_DEP_1) | instskip(SKIP_3) | instid1(VALU_DEP_4)
	v_or_b32_e32 v7, v7, v9
	v_or_b32_e32 v6, v6, v9
	;; [unrolled: 1-line block ×4, first 2 shown]
	v_cmp_ne_u16_e64 s0, 0, v7
	s_delay_alu instid0(VALU_DEP_4) | instskip(NEXT) | instid1(VALU_DEP_3)
	v_and_b32_e32 v6, 0xff, v6
	v_and_b32_e32 v8, 0xff, v8
	s_wait_alu 0xf1ff
	s_delay_alu instid0(VALU_DEP_3) | instskip(SKIP_1) | instid1(VALU_DEP_2)
	v_cndmask_b32_e64 v7, 0, 1, s0
	v_cmp_ne_u16_e64 s0, 0, v2
	v_lshlrev_b16 v7, 8, v7
	s_wait_alu 0xf1ff
	s_delay_alu instid0(VALU_DEP_2) | instskip(SKIP_1) | instid1(VALU_DEP_2)
	v_cndmask_b32_e64 v2, 0, 1, s0
	v_cmp_ne_u16_e64 s0, 0, v6
	v_lshlrev_b16 v2, 8, v2
	s_wait_alu 0xf1ff
	s_delay_alu instid0(VALU_DEP_2) | instskip(SKIP_1) | instid1(VALU_DEP_2)
	v_cndmask_b32_e64 v6, 0, 1, s0
	v_cmp_ne_u16_e64 s0, 0, v8
	v_or_b32_e32 v6, v6, v7
	s_wait_alu 0xf1ff
	s_delay_alu instid0(VALU_DEP_2) | instskip(NEXT) | instid1(VALU_DEP_2)
	v_cndmask_b32_e64 v8, 0, 1, s0
	v_lshlrev_b32_e32 v6, 16, v6
	s_delay_alu instid0(VALU_DEP_2) | instskip(NEXT) | instid1(VALU_DEP_1)
	v_or_b32_e32 v2, v8, v2
	v_and_b32_e32 v2, 0xffff, v2
	s_delay_alu instid0(VALU_DEP_1)
	v_or_b32_e32 v2, v2, v6
	global_store_b32 v[4:5], v2, off
	v_add_co_u32 v4, s0, v4, s5
	s_wait_alu 0xf1ff
	v_add_co_ci_u32_e64 v5, null, 0, v5, s0
	s_and_not1_b32 exec_lo, exec_lo, s4
	s_cbranch_execnz .LBB9_24
.LBB9_25:
	s_endpgm
	.section	.rodata,"a",@progbits
	.p2align	6, 0x0
	.amdhsa_kernel _ZN2at6native12_GLOBAL__N_125multi_tensor_apply_kernelINS1_18TensorListMetadataILi1EEENS1_27BinaryOpScalarTensorFunctorIbLi1ELi1ELi0EEEJSt4plusIbEPbbEEEvT_T0_DpT1_
		.amdhsa_group_segment_fixed_size 0
		.amdhsa_private_segment_fixed_size 0
		.amdhsa_kernarg_size 3648
		.amdhsa_user_sgpr_count 2
		.amdhsa_user_sgpr_dispatch_ptr 0
		.amdhsa_user_sgpr_queue_ptr 0
		.amdhsa_user_sgpr_kernarg_segment_ptr 1
		.amdhsa_user_sgpr_dispatch_id 0
		.amdhsa_user_sgpr_private_segment_size 0
		.amdhsa_wavefront_size32 1
		.amdhsa_uses_dynamic_stack 0
		.amdhsa_enable_private_segment 0
		.amdhsa_system_sgpr_workgroup_id_x 1
		.amdhsa_system_sgpr_workgroup_id_y 0
		.amdhsa_system_sgpr_workgroup_id_z 0
		.amdhsa_system_sgpr_workgroup_info 0
		.amdhsa_system_vgpr_workitem_id 0
		.amdhsa_next_free_vgpr 23
		.amdhsa_next_free_sgpr 24
		.amdhsa_reserve_vcc 1
		.amdhsa_float_round_mode_32 0
		.amdhsa_float_round_mode_16_64 0
		.amdhsa_float_denorm_mode_32 3
		.amdhsa_float_denorm_mode_16_64 3
		.amdhsa_fp16_overflow 0
		.amdhsa_workgroup_processor_mode 1
		.amdhsa_memory_ordered 1
		.amdhsa_forward_progress 1
		.amdhsa_inst_pref_size 13
		.amdhsa_round_robin_scheduling 0
		.amdhsa_exception_fp_ieee_invalid_op 0
		.amdhsa_exception_fp_denorm_src 0
		.amdhsa_exception_fp_ieee_div_zero 0
		.amdhsa_exception_fp_ieee_overflow 0
		.amdhsa_exception_fp_ieee_underflow 0
		.amdhsa_exception_fp_ieee_inexact 0
		.amdhsa_exception_int_div_zero 0
	.end_amdhsa_kernel
	.section	.text._ZN2at6native12_GLOBAL__N_125multi_tensor_apply_kernelINS1_18TensorListMetadataILi1EEENS1_27BinaryOpScalarTensorFunctorIbLi1ELi1ELi0EEEJSt4plusIbEPbbEEEvT_T0_DpT1_,"axG",@progbits,_ZN2at6native12_GLOBAL__N_125multi_tensor_apply_kernelINS1_18TensorListMetadataILi1EEENS1_27BinaryOpScalarTensorFunctorIbLi1ELi1ELi0EEEJSt4plusIbEPbbEEEvT_T0_DpT1_,comdat
.Lfunc_end9:
	.size	_ZN2at6native12_GLOBAL__N_125multi_tensor_apply_kernelINS1_18TensorListMetadataILi1EEENS1_27BinaryOpScalarTensorFunctorIbLi1ELi1ELi0EEEJSt4plusIbEPbbEEEvT_T0_DpT1_, .Lfunc_end9-_ZN2at6native12_GLOBAL__N_125multi_tensor_apply_kernelINS1_18TensorListMetadataILi1EEENS1_27BinaryOpScalarTensorFunctorIbLi1ELi1ELi0EEEJSt4plusIbEPbbEEEvT_T0_DpT1_
                                        ; -- End function
	.set _ZN2at6native12_GLOBAL__N_125multi_tensor_apply_kernelINS1_18TensorListMetadataILi1EEENS1_27BinaryOpScalarTensorFunctorIbLi1ELi1ELi0EEEJSt4plusIbEPbbEEEvT_T0_DpT1_.num_vgpr, 23
	.set _ZN2at6native12_GLOBAL__N_125multi_tensor_apply_kernelINS1_18TensorListMetadataILi1EEENS1_27BinaryOpScalarTensorFunctorIbLi1ELi1ELi0EEEJSt4plusIbEPbbEEEvT_T0_DpT1_.num_agpr, 0
	.set _ZN2at6native12_GLOBAL__N_125multi_tensor_apply_kernelINS1_18TensorListMetadataILi1EEENS1_27BinaryOpScalarTensorFunctorIbLi1ELi1ELi0EEEJSt4plusIbEPbbEEEvT_T0_DpT1_.numbered_sgpr, 24
	.set _ZN2at6native12_GLOBAL__N_125multi_tensor_apply_kernelINS1_18TensorListMetadataILi1EEENS1_27BinaryOpScalarTensorFunctorIbLi1ELi1ELi0EEEJSt4plusIbEPbbEEEvT_T0_DpT1_.num_named_barrier, 0
	.set _ZN2at6native12_GLOBAL__N_125multi_tensor_apply_kernelINS1_18TensorListMetadataILi1EEENS1_27BinaryOpScalarTensorFunctorIbLi1ELi1ELi0EEEJSt4plusIbEPbbEEEvT_T0_DpT1_.private_seg_size, 0
	.set _ZN2at6native12_GLOBAL__N_125multi_tensor_apply_kernelINS1_18TensorListMetadataILi1EEENS1_27BinaryOpScalarTensorFunctorIbLi1ELi1ELi0EEEJSt4plusIbEPbbEEEvT_T0_DpT1_.uses_vcc, 1
	.set _ZN2at6native12_GLOBAL__N_125multi_tensor_apply_kernelINS1_18TensorListMetadataILi1EEENS1_27BinaryOpScalarTensorFunctorIbLi1ELi1ELi0EEEJSt4plusIbEPbbEEEvT_T0_DpT1_.uses_flat_scratch, 0
	.set _ZN2at6native12_GLOBAL__N_125multi_tensor_apply_kernelINS1_18TensorListMetadataILi1EEENS1_27BinaryOpScalarTensorFunctorIbLi1ELi1ELi0EEEJSt4plusIbEPbbEEEvT_T0_DpT1_.has_dyn_sized_stack, 0
	.set _ZN2at6native12_GLOBAL__N_125multi_tensor_apply_kernelINS1_18TensorListMetadataILi1EEENS1_27BinaryOpScalarTensorFunctorIbLi1ELi1ELi0EEEJSt4plusIbEPbbEEEvT_T0_DpT1_.has_recursion, 0
	.set _ZN2at6native12_GLOBAL__N_125multi_tensor_apply_kernelINS1_18TensorListMetadataILi1EEENS1_27BinaryOpScalarTensorFunctorIbLi1ELi1ELi0EEEJSt4plusIbEPbbEEEvT_T0_DpT1_.has_indirect_call, 0
	.section	.AMDGPU.csdata,"",@progbits
; Kernel info:
; codeLenInByte = 1616
; TotalNumSgprs: 26
; NumVgprs: 23
; ScratchSize: 0
; MemoryBound: 0
; FloatMode: 240
; IeeeMode: 1
; LDSByteSize: 0 bytes/workgroup (compile time only)
; SGPRBlocks: 0
; VGPRBlocks: 2
; NumSGPRsForWavesPerEU: 26
; NumVGPRsForWavesPerEU: 23
; Occupancy: 16
; WaveLimiterHint : 0
; COMPUTE_PGM_RSRC2:SCRATCH_EN: 0
; COMPUTE_PGM_RSRC2:USER_SGPR: 2
; COMPUTE_PGM_RSRC2:TRAP_HANDLER: 0
; COMPUTE_PGM_RSRC2:TGID_X_EN: 1
; COMPUTE_PGM_RSRC2:TGID_Y_EN: 0
; COMPUTE_PGM_RSRC2:TGID_Z_EN: 0
; COMPUTE_PGM_RSRC2:TIDIG_COMP_CNT: 0
	.section	.text._ZN2at6native12_GLOBAL__N_125multi_tensor_apply_kernelINS1_18TensorListMetadataILi1EEENS1_27BinaryOpScalarTensorFunctorIN3c104HalfELi1ELi1ELi0EEEJSt4plusIfEPS7_fEEEvT_T0_DpT1_,"axG",@progbits,_ZN2at6native12_GLOBAL__N_125multi_tensor_apply_kernelINS1_18TensorListMetadataILi1EEENS1_27BinaryOpScalarTensorFunctorIN3c104HalfELi1ELi1ELi0EEEJSt4plusIfEPS7_fEEEvT_T0_DpT1_,comdat
	.globl	_ZN2at6native12_GLOBAL__N_125multi_tensor_apply_kernelINS1_18TensorListMetadataILi1EEENS1_27BinaryOpScalarTensorFunctorIN3c104HalfELi1ELi1ELi0EEEJSt4plusIfEPS7_fEEEvT_T0_DpT1_ ; -- Begin function _ZN2at6native12_GLOBAL__N_125multi_tensor_apply_kernelINS1_18TensorListMetadataILi1EEENS1_27BinaryOpScalarTensorFunctorIN3c104HalfELi1ELi1ELi0EEEJSt4plusIfEPS7_fEEEvT_T0_DpT1_
	.p2align	8
	.type	_ZN2at6native12_GLOBAL__N_125multi_tensor_apply_kernelINS1_18TensorListMetadataILi1EEENS1_27BinaryOpScalarTensorFunctorIN3c104HalfELi1ELi1ELi0EEEJSt4plusIfEPS7_fEEEvT_T0_DpT1_,@function
_ZN2at6native12_GLOBAL__N_125multi_tensor_apply_kernelINS1_18TensorListMetadataILi1EEENS1_27BinaryOpScalarTensorFunctorIN3c104HalfELi1ELi1ELi0EEEJSt4plusIfEPS7_fEEEvT_T0_DpT1_: ; @_ZN2at6native12_GLOBAL__N_125multi_tensor_apply_kernelINS1_18TensorListMetadataILi1EEENS1_27BinaryOpScalarTensorFunctorIN3c104HalfELi1ELi1ELi0EEEJSt4plusIfEPS7_fEEEvT_T0_DpT1_
; %bb.0:
	s_mov_b32 s2, ttmp9
	s_mov_b32 s3, 0
	s_delay_alu instid0(SALU_CYCLE_1)
	s_mul_u64 s[4:5], s[2:3], 3
	s_add_nc_u64 s[6:7], s[0:1], s[2:3]
	s_mov_b32 s17, s3
	s_add_nc_u64 s[4:5], s[6:7], s[4:5]
	s_clause 0x1
	s_load_b32 s4, s[4:5], 0x820
	s_load_u8 s2, s[0:1], ttmp9 offset:0x6e0
	s_wait_kmcnt 0x0
	s_ashr_i32 s5, s4, 31
	s_lshl_b32 s2, s2, 3
	s_clause 0x2
	s_load_b64 s[6:7], s[0:1], s2 offset:0x0
	s_load_b64 s[14:15], s[0:1], s2 offset:0x370
	s_load_b96 s[8:10], s[0:1], 0xd30
	s_lshl_b64 s[12:13], s[4:5], 17
	s_lshl_b64 s[4:5], s[4:5], 16
	s_wait_kmcnt 0x0
	s_and_b32 s2, s6, 7
	s_and_b32 s16, s14, 3
	s_sub_nc_u64 s[14:15], s[14:15], s[4:5]
	s_or_b64 s[2:3], s[2:3], s[16:17]
	s_delay_alu instid0(SALU_CYCLE_1)
	s_cmp_eq_u64 s[2:3], 0
	s_cbranch_scc1 .LBB10_21
; %bb.1:
	v_cmp_lt_i64_e64 s2, s[14:15], 1
	s_and_b32 vcc_lo, exec_lo, s2
	s_cbranch_vccnz .LBB10_20
; %bb.2:
	s_load_b32 s2, s[0:1], 0xd4c
	v_cmp_gt_i64_e64 s11, 0x10000, s[14:15]
	v_lshlrev_b32_e32 v1, 1, v0
	s_add_nc_u64 s[4:5], s[6:7], s[12:13]
	v_cmp_gt_u64_e64 s18, 0x10000, s[14:15]
	v_mov_b32_e32 v5, 0
	s_mov_b32 s3, 0
	v_add_co_u32 v1, s16, s4, v1
	s_and_b32 s11, s11, exec_lo
	v_add_co_ci_u32_e64 v2, null, s5, 0, s16
	s_cselect_b32 s17, s15, 0
	s_cselect_b32 s16, s14, 0x10000
	s_wait_kmcnt 0x0
	s_and_b32 s2, s2, 0xffff
	s_and_b32 s11, s18, exec_lo
	v_add_co_u32 v6, s24, v0, s2
	s_cselect_b32 s19, s15, 0
	s_cselect_b32 s18, s14, 0x10000
	s_lshl_b32 s11, s2, 1
	v_lshlrev_b32_e32 v3, 1, v6
	s_mul_i32 s21, s2, 3
	v_add_co_u32 v10, s11, s11, v0
	v_add_co_u32 v7, s21, s21, v0
	s_delay_alu instid0(VALU_DEP_3)
	v_add_co_u32 v3, s4, s4, v3
	s_wait_alu 0xf1ff
	v_add_co_ci_u32_e64 v8, null, 0, 0, s21
	v_add_co_ci_u32_e64 v9, null, 0, 0, s24
	;; [unrolled: 1-line block ×4, first 2 shown]
	s_lshl_b32 s20, s2, 2
	s_mul_u64 s[22:23], s[2:3], 6
	s_mov_b32 s21, s3
	s_lshl_b32 s11, s2, 3
	s_mov_b64 s[24:25], 0
	s_branch .LBB10_4
.LBB10_3:                               ;   in Loop: Header=BB10_4 Depth=1
	s_wait_alu 0xfffe
	s_or_b32 exec_lo, exec_lo, s2
	s_add_nc_u64 s[24:25], s[24:25], s[20:21]
	v_add_co_u32 v1, vcc_lo, v1, s11
	s_wait_alu 0xfffe
	v_cmp_lt_i64_e64 s2, s[24:25], s[16:17]
	s_wait_alu 0xfffd
	v_add_co_ci_u32_e64 v2, null, 0, v2, vcc_lo
	v_add_co_u32 v3, vcc_lo, v3, s11
	s_wait_alu 0xfffd
	v_add_co_ci_u32_e64 v4, null, 0, v4, vcc_lo
	s_and_b32 vcc_lo, exec_lo, s2
	s_wait_alu 0xfffe
	s_cbranch_vccz .LBB10_20
.LBB10_4:                               ; =>This Inner Loop Header: Depth=1
	s_wait_alu 0xfffe
	v_add_co_u32 v12, s2, v0, s24
	s_wait_alu 0xf1ff
	v_add_co_ci_u32_e64 v13, null, 0, s25, s2
	s_delay_alu instid0(VALU_DEP_1)
	v_cmp_gt_u64_e32 vcc_lo, s[18:19], v[12:13]
	v_mov_b32_e32 v12, 0
	s_and_saveexec_b32 s2, vcc_lo
	s_cbranch_execz .LBB10_6
; %bb.5:                                ;   in Loop: Header=BB10_4 Depth=1
	global_load_u16 v12, v[1:2], off
	s_wait_loadcnt 0x0
	v_cvt_f32_f16_e32 v12, v12
.LBB10_6:                               ;   in Loop: Header=BB10_4 Depth=1
	s_wait_alu 0xfffe
	s_or_b32 exec_lo, exec_lo, s2
	v_add_co_u32 v13, s2, v6, s24
	s_wait_alu 0xf1ff
	v_add_co_ci_u32_e64 v14, null, s25, v9, s2
	s_delay_alu instid0(VALU_DEP_1)
	v_cmp_gt_u64_e64 s2, s[18:19], v[13:14]
	v_dual_mov_b32 v13, 0 :: v_dual_mov_b32 v14, 0
	s_and_saveexec_b32 s3, s2
	s_cbranch_execz .LBB10_8
; %bb.7:                                ;   in Loop: Header=BB10_4 Depth=1
	global_load_u16 v14, v[3:4], off
	s_wait_loadcnt 0x0
	v_cvt_f32_f16_e32 v14, v14
.LBB10_8:                               ;   in Loop: Header=BB10_4 Depth=1
	s_wait_alu 0xfffe
	s_or_b32 exec_lo, exec_lo, s3
	v_add_co_u32 v15, s3, v10, s24
	s_wait_alu 0xf1ff
	v_add_co_ci_u32_e64 v16, null, s25, v11, s3
	s_delay_alu instid0(VALU_DEP_1)
	v_cmp_gt_u64_e64 s3, s[18:19], v[15:16]
	s_and_saveexec_b32 s5, s3
	s_cbranch_execz .LBB10_10
; %bb.9:                                ;   in Loop: Header=BB10_4 Depth=1
	v_add_co_u32 v15, s4, v1, s20
	s_wait_alu 0xf1ff
	v_add_co_ci_u32_e64 v16, null, 0, v2, s4
	global_load_u16 v13, v[15:16], off
	s_wait_loadcnt 0x0
	v_cvt_f32_f16_e32 v13, v13
.LBB10_10:                              ;   in Loop: Header=BB10_4 Depth=1
	s_wait_alu 0xfffe
	s_or_b32 exec_lo, exec_lo, s5
	v_add_co_u32 v15, s4, v7, s24
	s_wait_alu 0xf1ff
	v_add_co_ci_u32_e64 v16, null, s25, v8, s4
	s_delay_alu instid0(VALU_DEP_1)
	v_cmp_gt_u64_e64 s4, s[18:19], v[15:16]
	v_mov_b32_e32 v15, 0
	s_and_saveexec_b32 s26, s4
	s_cbranch_execz .LBB10_12
; %bb.11:                               ;   in Loop: Header=BB10_4 Depth=1
	v_add_co_u32 v15, s5, v1, s22
	s_wait_alu 0xf1ff
	v_add_co_ci_u32_e64 v16, null, s23, v2, s5
	global_load_u16 v15, v[15:16], off
	s_wait_loadcnt 0x0
	v_cvt_f32_f16_e32 v15, v15
.LBB10_12:                              ;   in Loop: Header=BB10_4 Depth=1
	s_or_b32 exec_lo, exec_lo, s26
	global_load_u16 v16, v5, s[8:9]
	s_wait_loadcnt 0x0
	v_cvt_f32_f16_e32 v16, v16
	s_delay_alu instid0(VALU_DEP_1)
	v_mul_f32_e32 v16, s10, v16
	s_and_saveexec_b32 s5, vcc_lo
	s_cbranch_execnz .LBB10_16
; %bb.13:                               ;   in Loop: Header=BB10_4 Depth=1
	s_wait_alu 0xfffe
	s_or_b32 exec_lo, exec_lo, s5
	s_and_saveexec_b32 s5, s2
	s_cbranch_execnz .LBB10_17
.LBB10_14:                              ;   in Loop: Header=BB10_4 Depth=1
	s_wait_alu 0xfffe
	s_or_b32 exec_lo, exec_lo, s5
	s_and_saveexec_b32 s2, s3
	s_cbranch_execnz .LBB10_18
.LBB10_15:                              ;   in Loop: Header=BB10_4 Depth=1
	s_wait_alu 0xfffe
	s_or_b32 exec_lo, exec_lo, s2
	s_and_saveexec_b32 s2, s4
	s_cbranch_execz .LBB10_3
	s_branch .LBB10_19
.LBB10_16:                              ;   in Loop: Header=BB10_4 Depth=1
	s_delay_alu instid0(VALU_DEP_1) | instskip(NEXT) | instid1(VALU_DEP_1)
	v_add_f32_e32 v12, v12, v16
	v_cvt_f16_f32_e32 v12, v12
	global_store_b16 v[1:2], v12, off
	s_wait_alu 0xfffe
	s_or_b32 exec_lo, exec_lo, s5
	s_and_saveexec_b32 s5, s2
	s_cbranch_execz .LBB10_14
.LBB10_17:                              ;   in Loop: Header=BB10_4 Depth=1
	v_add_f32_e32 v12, v14, v16
	s_delay_alu instid0(VALU_DEP_1)
	v_cvt_f16_f32_e32 v12, v12
	global_store_b16 v[3:4], v12, off
	s_wait_alu 0xfffe
	s_or_b32 exec_lo, exec_lo, s5
	s_and_saveexec_b32 s2, s3
	s_cbranch_execz .LBB10_15
.LBB10_18:                              ;   in Loop: Header=BB10_4 Depth=1
	v_add_f32_e32 v12, v13, v16
	s_delay_alu instid0(VALU_DEP_1)
	v_cvt_f16_f32_e32 v14, v12
	v_add_co_u32 v12, vcc_lo, v1, s20
	s_wait_alu 0xfffd
	v_add_co_ci_u32_e64 v13, null, 0, v2, vcc_lo
	global_store_b16 v[12:13], v14, off
	s_wait_alu 0xfffe
	s_or_b32 exec_lo, exec_lo, s2
	s_and_saveexec_b32 s2, s4
	s_cbranch_execz .LBB10_3
.LBB10_19:                              ;   in Loop: Header=BB10_4 Depth=1
	v_add_f32_e32 v12, v15, v16
	s_delay_alu instid0(VALU_DEP_1)
	v_cvt_f16_f32_e32 v14, v12
	v_add_co_u32 v12, vcc_lo, v1, s22
	s_wait_alu 0xfffd
	v_add_co_ci_u32_e64 v13, null, s23, v2, vcc_lo
	global_store_b16 v[12:13], v14, off
	s_branch .LBB10_3
.LBB10_20:
	s_cbranch_execz .LBB10_22
	s_branch .LBB10_25
.LBB10_21:
.LBB10_22:
	v_cmp_gt_i64_e64 s2, 0x10000, s[14:15]
	v_dual_mov_b32 v2, 0 :: v_dual_lshlrev_b32 v1, 2, v0
	s_mov_b32 s4, 0
	s_mov_b32 s5, exec_lo
	s_and_b32 s2, s2, exec_lo
	s_cselect_b32 s3, s15, 0
	s_cselect_b32 s2, s14, 0x10000
	s_wait_alu 0xfffe
	v_cmpx_gt_i64_e64 s[2:3], v[1:2]
	s_cbranch_execz .LBB10_25
; %bb.23:
	s_load_b32 s5, s[0:1], 0xd4c
	v_lshlrev_b32_e32 v1, 3, v0
	s_add_nc_u64 s[0:1], s[6:7], s[12:13]
	s_delay_alu instid0(VALU_DEP_1) | instid1(SALU_CYCLE_1)
	v_add_co_u32 v3, s0, s0, v1
	s_wait_alu 0xf1ff
	v_add_co_ci_u32_e64 v4, null, s1, 0, s0
	v_mov_b32_e32 v1, v2
	s_delay_alu instid0(VALU_DEP_3) | instskip(SKIP_1) | instid1(VALU_DEP_3)
	v_add_co_u32 v3, vcc_lo, v3, 4
	s_wait_alu 0xfffd
	v_add_co_ci_u32_e64 v4, null, 0, v4, vcc_lo
	s_wait_kmcnt 0x0
	s_and_b32 s1, s5, 0xffff
	s_wait_alu 0xfffe
	s_lshl_b32 s5, s1, 3
.LBB10_24:                              ; =>This Inner Loop Header: Depth=1
	global_load_b64 v[5:6], v[3:4], off offset:-4
	global_load_u16 v11, v2, s[8:9]
	v_add_co_u32 v0, vcc_lo, v0, s1
	s_wait_alu 0xfffd
	v_add_co_ci_u32_e64 v1, null, 0, v1, vcc_lo
	s_delay_alu instid0(VALU_DEP_1) | instskip(NEXT) | instid1(VALU_DEP_1)
	v_lshlrev_b64_e32 v[9:10], 2, v[0:1]
	v_cmp_le_i64_e32 vcc_lo, s[2:3], v[9:10]
	s_or_b32 s4, vcc_lo, s4
	s_wait_loadcnt 0x0
	v_fma_mixlo_f16 v8, s10, v11, v6 op_sel_hi:[0,1,1]
	v_fma_mixlo_f16 v7, s10, v11, v5 op_sel_hi:[0,1,1]
	s_delay_alu instid0(VALU_DEP_2) | instskip(NEXT) | instid1(VALU_DEP_2)
	v_fma_mixhi_f16 v8, s10, v11, v6 op_sel:[0,0,1] op_sel_hi:[0,1,1]
	v_fma_mixhi_f16 v7, s10, v11, v5 op_sel:[0,0,1] op_sel_hi:[0,1,1]
	global_store_b64 v[3:4], v[7:8], off offset:-4
	s_wait_alu 0xfffe
	v_add_co_u32 v3, s0, v3, s5
	s_wait_alu 0xf1ff
	v_add_co_ci_u32_e64 v4, null, 0, v4, s0
	s_and_not1_b32 exec_lo, exec_lo, s4
	s_cbranch_execnz .LBB10_24
.LBB10_25:
	s_endpgm
	.section	.rodata,"a",@progbits
	.p2align	6, 0x0
	.amdhsa_kernel _ZN2at6native12_GLOBAL__N_125multi_tensor_apply_kernelINS1_18TensorListMetadataILi1EEENS1_27BinaryOpScalarTensorFunctorIN3c104HalfELi1ELi1ELi0EEEJSt4plusIfEPS7_fEEEvT_T0_DpT1_
		.amdhsa_group_segment_fixed_size 0
		.amdhsa_private_segment_fixed_size 0
		.amdhsa_kernarg_size 3648
		.amdhsa_user_sgpr_count 2
		.amdhsa_user_sgpr_dispatch_ptr 0
		.amdhsa_user_sgpr_queue_ptr 0
		.amdhsa_user_sgpr_kernarg_segment_ptr 1
		.amdhsa_user_sgpr_dispatch_id 0
		.amdhsa_user_sgpr_private_segment_size 0
		.amdhsa_wavefront_size32 1
		.amdhsa_uses_dynamic_stack 0
		.amdhsa_enable_private_segment 0
		.amdhsa_system_sgpr_workgroup_id_x 1
		.amdhsa_system_sgpr_workgroup_id_y 0
		.amdhsa_system_sgpr_workgroup_id_z 0
		.amdhsa_system_sgpr_workgroup_info 0
		.amdhsa_system_vgpr_workitem_id 0
		.amdhsa_next_free_vgpr 17
		.amdhsa_next_free_sgpr 27
		.amdhsa_reserve_vcc 1
		.amdhsa_float_round_mode_32 0
		.amdhsa_float_round_mode_16_64 0
		.amdhsa_float_denorm_mode_32 3
		.amdhsa_float_denorm_mode_16_64 3
		.amdhsa_fp16_overflow 0
		.amdhsa_workgroup_processor_mode 1
		.amdhsa_memory_ordered 1
		.amdhsa_forward_progress 1
		.amdhsa_inst_pref_size 11
		.amdhsa_round_robin_scheduling 0
		.amdhsa_exception_fp_ieee_invalid_op 0
		.amdhsa_exception_fp_denorm_src 0
		.amdhsa_exception_fp_ieee_div_zero 0
		.amdhsa_exception_fp_ieee_overflow 0
		.amdhsa_exception_fp_ieee_underflow 0
		.amdhsa_exception_fp_ieee_inexact 0
		.amdhsa_exception_int_div_zero 0
	.end_amdhsa_kernel
	.section	.text._ZN2at6native12_GLOBAL__N_125multi_tensor_apply_kernelINS1_18TensorListMetadataILi1EEENS1_27BinaryOpScalarTensorFunctorIN3c104HalfELi1ELi1ELi0EEEJSt4plusIfEPS7_fEEEvT_T0_DpT1_,"axG",@progbits,_ZN2at6native12_GLOBAL__N_125multi_tensor_apply_kernelINS1_18TensorListMetadataILi1EEENS1_27BinaryOpScalarTensorFunctorIN3c104HalfELi1ELi1ELi0EEEJSt4plusIfEPS7_fEEEvT_T0_DpT1_,comdat
.Lfunc_end10:
	.size	_ZN2at6native12_GLOBAL__N_125multi_tensor_apply_kernelINS1_18TensorListMetadataILi1EEENS1_27BinaryOpScalarTensorFunctorIN3c104HalfELi1ELi1ELi0EEEJSt4plusIfEPS7_fEEEvT_T0_DpT1_, .Lfunc_end10-_ZN2at6native12_GLOBAL__N_125multi_tensor_apply_kernelINS1_18TensorListMetadataILi1EEENS1_27BinaryOpScalarTensorFunctorIN3c104HalfELi1ELi1ELi0EEEJSt4plusIfEPS7_fEEEvT_T0_DpT1_
                                        ; -- End function
	.set _ZN2at6native12_GLOBAL__N_125multi_tensor_apply_kernelINS1_18TensorListMetadataILi1EEENS1_27BinaryOpScalarTensorFunctorIN3c104HalfELi1ELi1ELi0EEEJSt4plusIfEPS7_fEEEvT_T0_DpT1_.num_vgpr, 17
	.set _ZN2at6native12_GLOBAL__N_125multi_tensor_apply_kernelINS1_18TensorListMetadataILi1EEENS1_27BinaryOpScalarTensorFunctorIN3c104HalfELi1ELi1ELi0EEEJSt4plusIfEPS7_fEEEvT_T0_DpT1_.num_agpr, 0
	.set _ZN2at6native12_GLOBAL__N_125multi_tensor_apply_kernelINS1_18TensorListMetadataILi1EEENS1_27BinaryOpScalarTensorFunctorIN3c104HalfELi1ELi1ELi0EEEJSt4plusIfEPS7_fEEEvT_T0_DpT1_.numbered_sgpr, 27
	.set _ZN2at6native12_GLOBAL__N_125multi_tensor_apply_kernelINS1_18TensorListMetadataILi1EEENS1_27BinaryOpScalarTensorFunctorIN3c104HalfELi1ELi1ELi0EEEJSt4plusIfEPS7_fEEEvT_T0_DpT1_.num_named_barrier, 0
	.set _ZN2at6native12_GLOBAL__N_125multi_tensor_apply_kernelINS1_18TensorListMetadataILi1EEENS1_27BinaryOpScalarTensorFunctorIN3c104HalfELi1ELi1ELi0EEEJSt4plusIfEPS7_fEEEvT_T0_DpT1_.private_seg_size, 0
	.set _ZN2at6native12_GLOBAL__N_125multi_tensor_apply_kernelINS1_18TensorListMetadataILi1EEENS1_27BinaryOpScalarTensorFunctorIN3c104HalfELi1ELi1ELi0EEEJSt4plusIfEPS7_fEEEvT_T0_DpT1_.uses_vcc, 1
	.set _ZN2at6native12_GLOBAL__N_125multi_tensor_apply_kernelINS1_18TensorListMetadataILi1EEENS1_27BinaryOpScalarTensorFunctorIN3c104HalfELi1ELi1ELi0EEEJSt4plusIfEPS7_fEEEvT_T0_DpT1_.uses_flat_scratch, 0
	.set _ZN2at6native12_GLOBAL__N_125multi_tensor_apply_kernelINS1_18TensorListMetadataILi1EEENS1_27BinaryOpScalarTensorFunctorIN3c104HalfELi1ELi1ELi0EEEJSt4plusIfEPS7_fEEEvT_T0_DpT1_.has_dyn_sized_stack, 0
	.set _ZN2at6native12_GLOBAL__N_125multi_tensor_apply_kernelINS1_18TensorListMetadataILi1EEENS1_27BinaryOpScalarTensorFunctorIN3c104HalfELi1ELi1ELi0EEEJSt4plusIfEPS7_fEEEvT_T0_DpT1_.has_recursion, 0
	.set _ZN2at6native12_GLOBAL__N_125multi_tensor_apply_kernelINS1_18TensorListMetadataILi1EEENS1_27BinaryOpScalarTensorFunctorIN3c104HalfELi1ELi1ELi0EEEJSt4plusIfEPS7_fEEEvT_T0_DpT1_.has_indirect_call, 0
	.section	.AMDGPU.csdata,"",@progbits
; Kernel info:
; codeLenInByte = 1340
; TotalNumSgprs: 29
; NumVgprs: 17
; ScratchSize: 0
; MemoryBound: 0
; FloatMode: 240
; IeeeMode: 1
; LDSByteSize: 0 bytes/workgroup (compile time only)
; SGPRBlocks: 0
; VGPRBlocks: 2
; NumSGPRsForWavesPerEU: 29
; NumVGPRsForWavesPerEU: 17
; Occupancy: 16
; WaveLimiterHint : 0
; COMPUTE_PGM_RSRC2:SCRATCH_EN: 0
; COMPUTE_PGM_RSRC2:USER_SGPR: 2
; COMPUTE_PGM_RSRC2:TRAP_HANDLER: 0
; COMPUTE_PGM_RSRC2:TGID_X_EN: 1
; COMPUTE_PGM_RSRC2:TGID_Y_EN: 0
; COMPUTE_PGM_RSRC2:TGID_Z_EN: 0
; COMPUTE_PGM_RSRC2:TIDIG_COMP_CNT: 0
	.section	.text._ZN2at6native12_GLOBAL__N_125multi_tensor_apply_kernelINS1_18TensorListMetadataILi1EEENS1_27BinaryOpScalarTensorFunctorIN3c108BFloat16ELi1ELi1ELi0EEEJSt4plusIfEPS7_fEEEvT_T0_DpT1_,"axG",@progbits,_ZN2at6native12_GLOBAL__N_125multi_tensor_apply_kernelINS1_18TensorListMetadataILi1EEENS1_27BinaryOpScalarTensorFunctorIN3c108BFloat16ELi1ELi1ELi0EEEJSt4plusIfEPS7_fEEEvT_T0_DpT1_,comdat
	.globl	_ZN2at6native12_GLOBAL__N_125multi_tensor_apply_kernelINS1_18TensorListMetadataILi1EEENS1_27BinaryOpScalarTensorFunctorIN3c108BFloat16ELi1ELi1ELi0EEEJSt4plusIfEPS7_fEEEvT_T0_DpT1_ ; -- Begin function _ZN2at6native12_GLOBAL__N_125multi_tensor_apply_kernelINS1_18TensorListMetadataILi1EEENS1_27BinaryOpScalarTensorFunctorIN3c108BFloat16ELi1ELi1ELi0EEEJSt4plusIfEPS7_fEEEvT_T0_DpT1_
	.p2align	8
	.type	_ZN2at6native12_GLOBAL__N_125multi_tensor_apply_kernelINS1_18TensorListMetadataILi1EEENS1_27BinaryOpScalarTensorFunctorIN3c108BFloat16ELi1ELi1ELi0EEEJSt4plusIfEPS7_fEEEvT_T0_DpT1_,@function
_ZN2at6native12_GLOBAL__N_125multi_tensor_apply_kernelINS1_18TensorListMetadataILi1EEENS1_27BinaryOpScalarTensorFunctorIN3c108BFloat16ELi1ELi1ELi0EEEJSt4plusIfEPS7_fEEEvT_T0_DpT1_: ; @_ZN2at6native12_GLOBAL__N_125multi_tensor_apply_kernelINS1_18TensorListMetadataILi1EEENS1_27BinaryOpScalarTensorFunctorIN3c108BFloat16ELi1ELi1ELi0EEEJSt4plusIfEPS7_fEEEvT_T0_DpT1_
; %bb.0:
	s_mov_b32 s2, ttmp9
	s_mov_b32 s3, 0
	s_delay_alu instid0(SALU_CYCLE_1)
	s_mul_u64 s[4:5], s[2:3], 3
	s_add_nc_u64 s[6:7], s[0:1], s[2:3]
	s_mov_b32 s17, s3
	s_add_nc_u64 s[4:5], s[6:7], s[4:5]
	s_clause 0x1
	s_load_b32 s4, s[4:5], 0x820
	s_load_u8 s2, s[0:1], ttmp9 offset:0x6e0
	s_wait_kmcnt 0x0
	s_ashr_i32 s5, s4, 31
	s_lshl_b32 s2, s2, 3
	s_clause 0x2
	s_load_b64 s[6:7], s[0:1], s2 offset:0x0
	s_load_b64 s[14:15], s[0:1], s2 offset:0x370
	s_load_b96 s[8:10], s[0:1], 0xd30
	s_lshl_b64 s[12:13], s[4:5], 17
	s_lshl_b64 s[4:5], s[4:5], 16
	s_wait_kmcnt 0x0
	s_and_b32 s2, s6, 7
	s_and_b32 s16, s14, 3
	s_sub_nc_u64 s[14:15], s[14:15], s[4:5]
	s_or_b64 s[2:3], s[2:3], s[16:17]
	s_delay_alu instid0(SALU_CYCLE_1)
	s_cmp_eq_u64 s[2:3], 0
	s_cbranch_scc1 .LBB11_21
; %bb.1:
	v_cmp_lt_i64_e64 s2, s[14:15], 1
	s_and_b32 vcc_lo, exec_lo, s2
	s_cbranch_vccnz .LBB11_20
; %bb.2:
	s_load_b32 s2, s[0:1], 0xd4c
	v_cmp_gt_i64_e64 s11, 0x10000, s[14:15]
	v_lshlrev_b32_e32 v1, 1, v0
	s_add_nc_u64 s[4:5], s[6:7], s[12:13]
	v_cmp_gt_u64_e64 s18, 0x10000, s[14:15]
	v_mov_b32_e32 v5, 0
	s_mov_b32 s3, 0
	v_add_co_u32 v1, s16, s4, v1
	s_and_b32 s11, s11, exec_lo
	v_add_co_ci_u32_e64 v2, null, s5, 0, s16
	s_cselect_b32 s17, s15, 0
	s_cselect_b32 s16, s14, 0x10000
	s_wait_kmcnt 0x0
	s_and_b32 s2, s2, 0xffff
	s_and_b32 s11, s18, exec_lo
	v_add_co_u32 v6, s24, v0, s2
	s_cselect_b32 s19, s15, 0
	s_cselect_b32 s18, s14, 0x10000
	s_lshl_b32 s11, s2, 1
	v_lshlrev_b32_e32 v3, 1, v6
	s_mul_i32 s21, s2, 3
	v_add_co_u32 v10, s11, s11, v0
	v_add_co_u32 v7, s21, s21, v0
	s_delay_alu instid0(VALU_DEP_3)
	v_add_co_u32 v3, s4, s4, v3
	s_wait_alu 0xf1ff
	v_add_co_ci_u32_e64 v8, null, 0, 0, s21
	v_add_co_ci_u32_e64 v9, null, 0, 0, s24
	;; [unrolled: 1-line block ×4, first 2 shown]
	s_lshl_b32 s20, s2, 2
	s_mul_u64 s[22:23], s[2:3], 6
	s_mov_b32 s21, s3
	s_lshl_b32 s11, s2, 3
	s_mov_b64 s[24:25], 0
	s_branch .LBB11_4
.LBB11_3:                               ;   in Loop: Header=BB11_4 Depth=1
	s_wait_alu 0xfffe
	s_or_b32 exec_lo, exec_lo, s2
	s_add_nc_u64 s[24:25], s[24:25], s[20:21]
	v_add_co_u32 v1, vcc_lo, v1, s11
	s_wait_alu 0xfffe
	v_cmp_lt_i64_e64 s2, s[24:25], s[16:17]
	s_wait_alu 0xfffd
	v_add_co_ci_u32_e64 v2, null, 0, v2, vcc_lo
	v_add_co_u32 v3, vcc_lo, v3, s11
	s_wait_alu 0xfffd
	v_add_co_ci_u32_e64 v4, null, 0, v4, vcc_lo
	s_and_b32 vcc_lo, exec_lo, s2
	s_wait_alu 0xfffe
	s_cbranch_vccz .LBB11_20
.LBB11_4:                               ; =>This Inner Loop Header: Depth=1
	s_wait_alu 0xfffe
	v_add_co_u32 v12, s2, v0, s24
	s_wait_alu 0xf1ff
	v_add_co_ci_u32_e64 v13, null, 0, s25, s2
	s_delay_alu instid0(VALU_DEP_1)
	v_cmp_gt_u64_e32 vcc_lo, s[18:19], v[12:13]
	v_mov_b32_e32 v13, 0
	s_and_saveexec_b32 s2, vcc_lo
	s_cbranch_execz .LBB11_6
; %bb.5:                                ;   in Loop: Header=BB11_4 Depth=1
	global_load_u16 v12, v[1:2], off
	s_wait_loadcnt 0x0
	v_lshlrev_b32_e32 v13, 16, v12
.LBB11_6:                               ;   in Loop: Header=BB11_4 Depth=1
	s_wait_alu 0xfffe
	s_or_b32 exec_lo, exec_lo, s2
	v_add_co_u32 v14, s2, v6, s24
	s_wait_alu 0xf1ff
	v_add_co_ci_u32_e64 v15, null, s25, v9, s2
	v_mov_b32_e32 v12, 0
	s_delay_alu instid0(VALU_DEP_2)
	v_cmp_gt_u64_e64 s2, s[18:19], v[14:15]
	v_mov_b32_e32 v14, 0
	s_and_saveexec_b32 s3, s2
	s_cbranch_execz .LBB11_8
; %bb.7:                                ;   in Loop: Header=BB11_4 Depth=1
	global_load_u16 v14, v[3:4], off
	s_wait_loadcnt 0x0
	v_lshlrev_b32_e32 v14, 16, v14
.LBB11_8:                               ;   in Loop: Header=BB11_4 Depth=1
	s_wait_alu 0xfffe
	s_or_b32 exec_lo, exec_lo, s3
	v_add_co_u32 v15, s3, v10, s24
	s_wait_alu 0xf1ff
	v_add_co_ci_u32_e64 v16, null, s25, v11, s3
	s_delay_alu instid0(VALU_DEP_1)
	v_cmp_gt_u64_e64 s3, s[18:19], v[15:16]
	s_and_saveexec_b32 s5, s3
	s_cbranch_execz .LBB11_10
; %bb.9:                                ;   in Loop: Header=BB11_4 Depth=1
	v_add_co_u32 v15, s4, v1, s20
	s_wait_alu 0xf1ff
	v_add_co_ci_u32_e64 v16, null, 0, v2, s4
	global_load_u16 v12, v[15:16], off
	s_wait_loadcnt 0x0
	v_lshlrev_b32_e32 v12, 16, v12
.LBB11_10:                              ;   in Loop: Header=BB11_4 Depth=1
	s_wait_alu 0xfffe
	s_or_b32 exec_lo, exec_lo, s5
	v_add_co_u32 v15, s4, v7, s24
	s_wait_alu 0xf1ff
	v_add_co_ci_u32_e64 v16, null, s25, v8, s4
	s_delay_alu instid0(VALU_DEP_1)
	v_cmp_gt_u64_e64 s4, s[18:19], v[15:16]
	v_mov_b32_e32 v15, 0
	s_and_saveexec_b32 s26, s4
	s_cbranch_execz .LBB11_12
; %bb.11:                               ;   in Loop: Header=BB11_4 Depth=1
	v_add_co_u32 v15, s5, v1, s22
	s_wait_alu 0xf1ff
	v_add_co_ci_u32_e64 v16, null, s23, v2, s5
	global_load_u16 v15, v[15:16], off
	s_wait_loadcnt 0x0
	v_lshlrev_b32_e32 v15, 16, v15
.LBB11_12:                              ;   in Loop: Header=BB11_4 Depth=1
	s_or_b32 exec_lo, exec_lo, s26
	global_load_u16 v16, v5, s[8:9]
	s_wait_loadcnt 0x0
	v_lshlrev_b32_e32 v16, 16, v16
	s_delay_alu instid0(VALU_DEP_1)
	v_mul_f32_e32 v16, s10, v16
	s_and_saveexec_b32 s5, vcc_lo
	s_cbranch_execnz .LBB11_16
; %bb.13:                               ;   in Loop: Header=BB11_4 Depth=1
	s_wait_alu 0xfffe
	s_or_b32 exec_lo, exec_lo, s5
	s_and_saveexec_b32 s5, s2
	s_cbranch_execnz .LBB11_17
.LBB11_14:                              ;   in Loop: Header=BB11_4 Depth=1
	s_wait_alu 0xfffe
	s_or_b32 exec_lo, exec_lo, s5
	s_and_saveexec_b32 s2, s3
	s_cbranch_execnz .LBB11_18
.LBB11_15:                              ;   in Loop: Header=BB11_4 Depth=1
	s_wait_alu 0xfffe
	s_or_b32 exec_lo, exec_lo, s2
	s_and_saveexec_b32 s2, s4
	s_cbranch_execz .LBB11_3
	s_branch .LBB11_19
.LBB11_16:                              ;   in Loop: Header=BB11_4 Depth=1
	s_delay_alu instid0(VALU_DEP_1) | instskip(NEXT) | instid1(VALU_DEP_1)
	v_add_f32_e32 v13, v13, v16
	v_bfe_u32 v17, v13, 16, 1
	v_cmp_o_f32_e32 vcc_lo, v13, v13
	s_delay_alu instid0(VALU_DEP_2) | instskip(NEXT) | instid1(VALU_DEP_1)
	v_add3_u32 v17, v13, v17, 0x7fff
	v_lshrrev_b32_e32 v17, 16, v17
	s_wait_alu 0xfffd
	s_delay_alu instid0(VALU_DEP_1)
	v_cndmask_b32_e32 v13, 0x7fc0, v17, vcc_lo
	global_store_b16 v[1:2], v13, off
	s_wait_alu 0xfffe
	s_or_b32 exec_lo, exec_lo, s5
	s_and_saveexec_b32 s5, s2
	s_cbranch_execz .LBB11_14
.LBB11_17:                              ;   in Loop: Header=BB11_4 Depth=1
	v_add_f32_e32 v13, v14, v16
	s_delay_alu instid0(VALU_DEP_1) | instskip(SKIP_1) | instid1(VALU_DEP_2)
	v_bfe_u32 v14, v13, 16, 1
	v_cmp_o_f32_e32 vcc_lo, v13, v13
	v_add3_u32 v14, v13, v14, 0x7fff
	s_delay_alu instid0(VALU_DEP_1) | instskip(SKIP_1) | instid1(VALU_DEP_1)
	v_lshrrev_b32_e32 v14, 16, v14
	s_wait_alu 0xfffd
	v_cndmask_b32_e32 v13, 0x7fc0, v14, vcc_lo
	global_store_b16 v[3:4], v13, off
	s_wait_alu 0xfffe
	s_or_b32 exec_lo, exec_lo, s5
	s_and_saveexec_b32 s2, s3
	s_cbranch_execz .LBB11_15
.LBB11_18:                              ;   in Loop: Header=BB11_4 Depth=1
	v_add_f32_e32 v12, v12, v16
	s_delay_alu instid0(VALU_DEP_1) | instskip(SKIP_1) | instid1(VALU_DEP_2)
	v_bfe_u32 v13, v12, 16, 1
	v_cmp_o_f32_e32 vcc_lo, v12, v12
	v_add3_u32 v13, v12, v13, 0x7fff
	s_delay_alu instid0(VALU_DEP_1) | instskip(SKIP_1) | instid1(VALU_DEP_1)
	v_lshrrev_b32_e32 v13, 16, v13
	s_wait_alu 0xfffd
	v_cndmask_b32_e32 v14, 0x7fc0, v13, vcc_lo
	v_add_co_u32 v12, vcc_lo, v1, s20
	s_wait_alu 0xfffd
	v_add_co_ci_u32_e64 v13, null, 0, v2, vcc_lo
	global_store_b16 v[12:13], v14, off
	s_wait_alu 0xfffe
	s_or_b32 exec_lo, exec_lo, s2
	s_and_saveexec_b32 s2, s4
	s_cbranch_execz .LBB11_3
.LBB11_19:                              ;   in Loop: Header=BB11_4 Depth=1
	v_add_f32_e32 v12, v15, v16
	s_delay_alu instid0(VALU_DEP_1) | instskip(SKIP_1) | instid1(VALU_DEP_2)
	v_bfe_u32 v13, v12, 16, 1
	v_cmp_o_f32_e32 vcc_lo, v12, v12
	v_add3_u32 v13, v12, v13, 0x7fff
	s_delay_alu instid0(VALU_DEP_1) | instskip(SKIP_1) | instid1(VALU_DEP_1)
	v_lshrrev_b32_e32 v13, 16, v13
	s_wait_alu 0xfffd
	v_cndmask_b32_e32 v14, 0x7fc0, v13, vcc_lo
	v_add_co_u32 v12, vcc_lo, v1, s22
	s_wait_alu 0xfffd
	v_add_co_ci_u32_e64 v13, null, s23, v2, vcc_lo
	global_store_b16 v[12:13], v14, off
	s_branch .LBB11_3
.LBB11_20:
	s_cbranch_execz .LBB11_22
	s_branch .LBB11_25
.LBB11_21:
.LBB11_22:
	v_cmp_gt_i64_e64 s2, 0x10000, s[14:15]
	v_dual_mov_b32 v2, 0 :: v_dual_lshlrev_b32 v1, 2, v0
	s_mov_b32 s4, 0
	s_mov_b32 s5, exec_lo
	s_and_b32 s2, s2, exec_lo
	s_cselect_b32 s3, s15, 0
	s_cselect_b32 s2, s14, 0x10000
	s_wait_alu 0xfffe
	v_cmpx_gt_i64_e64 s[2:3], v[1:2]
	s_cbranch_execz .LBB11_25
; %bb.23:
	s_load_b32 s5, s[0:1], 0xd4c
	v_lshlrev_b32_e32 v3, 3, v0
	s_add_nc_u64 s[0:1], s[6:7], s[12:13]
	v_mov_b32_e32 v1, v2
	s_delay_alu instid0(VALU_DEP_2)
	v_add_co_u32 v3, s0, s0, v3
	s_wait_alu 0xf1ff
	v_add_co_ci_u32_e64 v4, null, s1, 0, s0
	s_wait_kmcnt 0x0
	s_and_b32 s1, s5, 0xffff
	s_wait_alu 0xfffe
	s_lshl_b32 s5, s1, 3
.LBB11_24:                              ; =>This Inner Loop Header: Depth=1
	global_load_b64 v[5:6], v[3:4], off
	global_load_u16 v7, v2, s[8:9]
	v_add_co_u32 v0, vcc_lo, v0, s1
	s_wait_alu 0xfffd
	v_add_co_ci_u32_e64 v1, null, 0, v1, vcc_lo
	s_wait_loadcnt 0x1
	v_alignbit_b32 v8, v6, v5, 16
	s_wait_loadcnt 0x0
	v_lshlrev_b32_e32 v7, 16, v7
	v_and_b32_e32 v6, 0xffff0000, v6
	v_lshlrev_b32_e32 v9, 16, v5
	v_and_b32_e32 v8, 0xffff0000, v8
	s_delay_alu instid0(VALU_DEP_3) | instskip(NEXT) | instid1(VALU_DEP_3)
	v_dual_fmac_f32 v6, s10, v7 :: v_dual_and_b32 v5, 0xffff0000, v5
	v_fmac_f32_e32 v9, s10, v7
	s_delay_alu instid0(VALU_DEP_3) | instskip(NEXT) | instid1(VALU_DEP_3)
	v_fmac_f32_e32 v8, s10, v7
	v_fmac_f32_e32 v5, s10, v7
	s_delay_alu instid0(VALU_DEP_4) | instskip(NEXT) | instid1(VALU_DEP_4)
	v_bfe_u32 v11, v6, 16, 1
	v_bfe_u32 v7, v9, 16, 1
	s_delay_alu instid0(VALU_DEP_4) | instskip(NEXT) | instid1(VALU_DEP_4)
	v_bfe_u32 v12, v8, 16, 1
	v_bfe_u32 v10, v5, 16, 1
	v_cmp_o_f32_e32 vcc_lo, v5, v5
	s_delay_alu instid0(VALU_DEP_4) | instskip(SKIP_3) | instid1(VALU_DEP_4)
	v_add3_u32 v7, v9, v7, 0x7fff
	v_add3_u32 v11, v6, v11, 0x7fff
	;; [unrolled: 1-line block ×4, first 2 shown]
	v_lshrrev_b32_e32 v7, 16, v7
	s_delay_alu instid0(VALU_DEP_4) | instskip(NEXT) | instid1(VALU_DEP_4)
	v_and_b32_e32 v11, 0xffff0000, v11
	v_lshrrev_b32_e32 v12, 16, v12
	s_delay_alu instid0(VALU_DEP_4) | instskip(SKIP_1) | instid1(VALU_DEP_1)
	v_and_b32_e32 v10, 0xffff0000, v10
	s_wait_alu 0xfffd
	v_cndmask_b32_e32 v5, 0x7fc00000, v10, vcc_lo
	v_cmp_o_f32_e32 vcc_lo, v9, v9
	s_wait_alu 0xfffd
	v_cndmask_b32_e32 v7, 0x7fc0, v7, vcc_lo
	v_cmp_o_f32_e32 vcc_lo, v6, v6
	s_delay_alu instid0(VALU_DEP_2)
	v_or_b32_e32 v7, v7, v5
	s_wait_alu 0xfffd
	v_cndmask_b32_e32 v9, 0x7fc00000, v11, vcc_lo
	v_cmp_o_f32_e32 vcc_lo, v8, v8
	v_lshlrev_b64_e32 v[5:6], 2, v[0:1]
	v_or3_b32 v7, v7, 0, 0
	s_wait_alu 0xfffd
	v_cndmask_b32_e32 v8, 0x7fc0, v12, vcc_lo
	s_delay_alu instid0(VALU_DEP_3) | instskip(NEXT) | instid1(VALU_DEP_2)
	v_cmp_le_i64_e32 vcc_lo, s[2:3], v[5:6]
	v_or3_b32 v8, 0, v8, v9
	s_or_b32 s4, vcc_lo, s4
	global_store_b64 v[3:4], v[7:8], off
	s_wait_alu 0xfffe
	v_add_co_u32 v3, s0, v3, s5
	s_wait_alu 0xf1ff
	v_add_co_ci_u32_e64 v4, null, 0, v4, s0
	s_and_not1_b32 exec_lo, exec_lo, s4
	s_cbranch_execnz .LBB11_24
.LBB11_25:
	s_endpgm
	.section	.rodata,"a",@progbits
	.p2align	6, 0x0
	.amdhsa_kernel _ZN2at6native12_GLOBAL__N_125multi_tensor_apply_kernelINS1_18TensorListMetadataILi1EEENS1_27BinaryOpScalarTensorFunctorIN3c108BFloat16ELi1ELi1ELi0EEEJSt4plusIfEPS7_fEEEvT_T0_DpT1_
		.amdhsa_group_segment_fixed_size 0
		.amdhsa_private_segment_fixed_size 0
		.amdhsa_kernarg_size 3648
		.amdhsa_user_sgpr_count 2
		.amdhsa_user_sgpr_dispatch_ptr 0
		.amdhsa_user_sgpr_queue_ptr 0
		.amdhsa_user_sgpr_kernarg_segment_ptr 1
		.amdhsa_user_sgpr_dispatch_id 0
		.amdhsa_user_sgpr_private_segment_size 0
		.amdhsa_wavefront_size32 1
		.amdhsa_uses_dynamic_stack 0
		.amdhsa_enable_private_segment 0
		.amdhsa_system_sgpr_workgroup_id_x 1
		.amdhsa_system_sgpr_workgroup_id_y 0
		.amdhsa_system_sgpr_workgroup_id_z 0
		.amdhsa_system_sgpr_workgroup_info 0
		.amdhsa_system_vgpr_workitem_id 0
		.amdhsa_next_free_vgpr 18
		.amdhsa_next_free_sgpr 27
		.amdhsa_reserve_vcc 1
		.amdhsa_float_round_mode_32 0
		.amdhsa_float_round_mode_16_64 0
		.amdhsa_float_denorm_mode_32 3
		.amdhsa_float_denorm_mode_16_64 3
		.amdhsa_fp16_overflow 0
		.amdhsa_workgroup_processor_mode 1
		.amdhsa_memory_ordered 1
		.amdhsa_forward_progress 1
		.amdhsa_inst_pref_size 14
		.amdhsa_round_robin_scheduling 0
		.amdhsa_exception_fp_ieee_invalid_op 0
		.amdhsa_exception_fp_denorm_src 0
		.amdhsa_exception_fp_ieee_div_zero 0
		.amdhsa_exception_fp_ieee_overflow 0
		.amdhsa_exception_fp_ieee_underflow 0
		.amdhsa_exception_fp_ieee_inexact 0
		.amdhsa_exception_int_div_zero 0
	.end_amdhsa_kernel
	.section	.text._ZN2at6native12_GLOBAL__N_125multi_tensor_apply_kernelINS1_18TensorListMetadataILi1EEENS1_27BinaryOpScalarTensorFunctorIN3c108BFloat16ELi1ELi1ELi0EEEJSt4plusIfEPS7_fEEEvT_T0_DpT1_,"axG",@progbits,_ZN2at6native12_GLOBAL__N_125multi_tensor_apply_kernelINS1_18TensorListMetadataILi1EEENS1_27BinaryOpScalarTensorFunctorIN3c108BFloat16ELi1ELi1ELi0EEEJSt4plusIfEPS7_fEEEvT_T0_DpT1_,comdat
.Lfunc_end11:
	.size	_ZN2at6native12_GLOBAL__N_125multi_tensor_apply_kernelINS1_18TensorListMetadataILi1EEENS1_27BinaryOpScalarTensorFunctorIN3c108BFloat16ELi1ELi1ELi0EEEJSt4plusIfEPS7_fEEEvT_T0_DpT1_, .Lfunc_end11-_ZN2at6native12_GLOBAL__N_125multi_tensor_apply_kernelINS1_18TensorListMetadataILi1EEENS1_27BinaryOpScalarTensorFunctorIN3c108BFloat16ELi1ELi1ELi0EEEJSt4plusIfEPS7_fEEEvT_T0_DpT1_
                                        ; -- End function
	.set _ZN2at6native12_GLOBAL__N_125multi_tensor_apply_kernelINS1_18TensorListMetadataILi1EEENS1_27BinaryOpScalarTensorFunctorIN3c108BFloat16ELi1ELi1ELi0EEEJSt4plusIfEPS7_fEEEvT_T0_DpT1_.num_vgpr, 18
	.set _ZN2at6native12_GLOBAL__N_125multi_tensor_apply_kernelINS1_18TensorListMetadataILi1EEENS1_27BinaryOpScalarTensorFunctorIN3c108BFloat16ELi1ELi1ELi0EEEJSt4plusIfEPS7_fEEEvT_T0_DpT1_.num_agpr, 0
	.set _ZN2at6native12_GLOBAL__N_125multi_tensor_apply_kernelINS1_18TensorListMetadataILi1EEENS1_27BinaryOpScalarTensorFunctorIN3c108BFloat16ELi1ELi1ELi0EEEJSt4plusIfEPS7_fEEEvT_T0_DpT1_.numbered_sgpr, 27
	.set _ZN2at6native12_GLOBAL__N_125multi_tensor_apply_kernelINS1_18TensorListMetadataILi1EEENS1_27BinaryOpScalarTensorFunctorIN3c108BFloat16ELi1ELi1ELi0EEEJSt4plusIfEPS7_fEEEvT_T0_DpT1_.num_named_barrier, 0
	.set _ZN2at6native12_GLOBAL__N_125multi_tensor_apply_kernelINS1_18TensorListMetadataILi1EEENS1_27BinaryOpScalarTensorFunctorIN3c108BFloat16ELi1ELi1ELi0EEEJSt4plusIfEPS7_fEEEvT_T0_DpT1_.private_seg_size, 0
	.set _ZN2at6native12_GLOBAL__N_125multi_tensor_apply_kernelINS1_18TensorListMetadataILi1EEENS1_27BinaryOpScalarTensorFunctorIN3c108BFloat16ELi1ELi1ELi0EEEJSt4plusIfEPS7_fEEEvT_T0_DpT1_.uses_vcc, 1
	.set _ZN2at6native12_GLOBAL__N_125multi_tensor_apply_kernelINS1_18TensorListMetadataILi1EEENS1_27BinaryOpScalarTensorFunctorIN3c108BFloat16ELi1ELi1ELi0EEEJSt4plusIfEPS7_fEEEvT_T0_DpT1_.uses_flat_scratch, 0
	.set _ZN2at6native12_GLOBAL__N_125multi_tensor_apply_kernelINS1_18TensorListMetadataILi1EEENS1_27BinaryOpScalarTensorFunctorIN3c108BFloat16ELi1ELi1ELi0EEEJSt4plusIfEPS7_fEEEvT_T0_DpT1_.has_dyn_sized_stack, 0
	.set _ZN2at6native12_GLOBAL__N_125multi_tensor_apply_kernelINS1_18TensorListMetadataILi1EEENS1_27BinaryOpScalarTensorFunctorIN3c108BFloat16ELi1ELi1ELi0EEEJSt4plusIfEPS7_fEEEvT_T0_DpT1_.has_recursion, 0
	.set _ZN2at6native12_GLOBAL__N_125multi_tensor_apply_kernelINS1_18TensorListMetadataILi1EEENS1_27BinaryOpScalarTensorFunctorIN3c108BFloat16ELi1ELi1ELi0EEEJSt4plusIfEPS7_fEEEvT_T0_DpT1_.has_indirect_call, 0
	.section	.AMDGPU.csdata,"",@progbits
; Kernel info:
; codeLenInByte = 1724
; TotalNumSgprs: 29
; NumVgprs: 18
; ScratchSize: 0
; MemoryBound: 0
; FloatMode: 240
; IeeeMode: 1
; LDSByteSize: 0 bytes/workgroup (compile time only)
; SGPRBlocks: 0
; VGPRBlocks: 2
; NumSGPRsForWavesPerEU: 29
; NumVGPRsForWavesPerEU: 18
; Occupancy: 16
; WaveLimiterHint : 0
; COMPUTE_PGM_RSRC2:SCRATCH_EN: 0
; COMPUTE_PGM_RSRC2:USER_SGPR: 2
; COMPUTE_PGM_RSRC2:TRAP_HANDLER: 0
; COMPUTE_PGM_RSRC2:TGID_X_EN: 1
; COMPUTE_PGM_RSRC2:TGID_Y_EN: 0
; COMPUTE_PGM_RSRC2:TGID_Z_EN: 0
; COMPUTE_PGM_RSRC2:TIDIG_COMP_CNT: 0
	.section	.text._ZN2at6native12_GLOBAL__N_125multi_tensor_apply_kernelINS1_18TensorListMetadataILi2EEENS1_27BinaryOpScalarTensorFunctorIhLi2ELi1ELi1EEEJSt4plusIhEPhhEEEvT_T0_DpT1_,"axG",@progbits,_ZN2at6native12_GLOBAL__N_125multi_tensor_apply_kernelINS1_18TensorListMetadataILi2EEENS1_27BinaryOpScalarTensorFunctorIhLi2ELi1ELi1EEEJSt4plusIhEPhhEEEvT_T0_DpT1_,comdat
	.globl	_ZN2at6native12_GLOBAL__N_125multi_tensor_apply_kernelINS1_18TensorListMetadataILi2EEENS1_27BinaryOpScalarTensorFunctorIhLi2ELi1ELi1EEEJSt4plusIhEPhhEEEvT_T0_DpT1_ ; -- Begin function _ZN2at6native12_GLOBAL__N_125multi_tensor_apply_kernelINS1_18TensorListMetadataILi2EEENS1_27BinaryOpScalarTensorFunctorIhLi2ELi1ELi1EEEJSt4plusIhEPhhEEEvT_T0_DpT1_
	.p2align	8
	.type	_ZN2at6native12_GLOBAL__N_125multi_tensor_apply_kernelINS1_18TensorListMetadataILi2EEENS1_27BinaryOpScalarTensorFunctorIhLi2ELi1ELi1EEEJSt4plusIhEPhhEEEvT_T0_DpT1_,@function
_ZN2at6native12_GLOBAL__N_125multi_tensor_apply_kernelINS1_18TensorListMetadataILi2EEENS1_27BinaryOpScalarTensorFunctorIhLi2ELi1ELi1EEEJSt4plusIhEPhhEEEvT_T0_DpT1_: ; @_ZN2at6native12_GLOBAL__N_125multi_tensor_apply_kernelINS1_18TensorListMetadataILi2EEENS1_27BinaryOpScalarTensorFunctorIhLi2ELi1ELi1EEEJSt4plusIhEPhhEEEvT_T0_DpT1_
; %bb.0:
	s_mov_b32 s2, ttmp9
	s_mov_b32 s3, 0
	s_delay_alu instid0(SALU_CYCLE_1) | instskip(SKIP_1) | instid1(SALU_CYCLE_1)
	s_mul_u64 s[4:5], s[2:3], 3
	s_add_nc_u64 s[2:3], s[0:1], s[2:3]
	s_add_nc_u64 s[2:3], s[2:3], s[4:5]
	s_clause 0x1
	s_load_b32 s2, s[2:3], 0x740
	s_load_u8 s3, s[0:1], ttmp9 offset:0x600
	s_wait_kmcnt 0x0
	s_lshl_b32 s3, s3, 3
	s_clause 0x3
	s_load_b64 s[8:9], s[0:1], s3 offset:0x400
	s_load_b64 s[12:13], s[0:1], s3 offset:0x0
	s_load_b64 s[14:15], s[0:1], s3 offset:0x200
	s_load_b96 s[4:6], s[0:1], 0xc50
	s_ashr_i32 s3, s2, 31
	s_delay_alu instid0(SALU_CYCLE_1) | instskip(SKIP_4) | instid1(SALU_CYCLE_1)
	s_lshl_b64 s[16:17], s[2:3], 16
	s_wait_kmcnt 0x0
	s_sub_nc_u64 s[10:11], s[8:9], s[16:17]
	s_add_nc_u64 s[2:3], s[12:13], s[16:17]
	s_or_b32 s3, s8, s14
	s_or_b32 s2, s3, s2
	s_delay_alu instid0(SALU_CYCLE_1) | instskip(NEXT) | instid1(SALU_CYCLE_1)
	s_and_b32 s2, s2, 3
	s_cmp_eq_u32 s2, 0
	s_mov_b32 s2, -1
	s_cbranch_scc0 .LBB12_5
; %bb.1:
	v_cmp_gt_i64_e64 s2, 0x10000, s[10:11]
	v_dual_mov_b32 v3, 0 :: v_dual_lshlrev_b32 v2, 2, v0
	s_mov_b32 s3, exec_lo
	s_and_b32 s2, s2, exec_lo
	s_cselect_b32 s9, s11, 0
	s_cselect_b32 s8, s10, 0x10000
	s_delay_alu instid0(SALU_CYCLE_1)
	v_cmpx_gt_i64_e64 s[8:9], v[2:3]
	s_cbranch_execz .LBB12_4
; %bb.2:
	s_load_b32 s2, s[0:1], 0xc6c
	v_mov_b32_e32 v1, v3
	v_add_co_u32 v4, s7, s16, v2
	s_delay_alu instid0(VALU_DEP_1) | instskip(NEXT) | instid1(VALU_DEP_3)
	v_add_co_ci_u32_e64 v5, null, s17, 0, s7
	v_mov_b32_e32 v2, v1
	v_mov_b32_e32 v1, v0
	s_mov_b32 s18, 0
	s_wait_kmcnt 0x0
	s_and_b32 s7, s2, 0xffff
	s_wait_alu 0xfffe
	s_lshl_b32 s19, s7, 2
.LBB12_3:                               ; =>This Inner Loop Header: Depth=1
	v_add_co_u32 v6, vcc_lo, s12, v4
	s_wait_alu 0xfffd
	v_add_co_ci_u32_e64 v7, null, s13, v5, vcc_lo
	v_add_co_u32 v1, vcc_lo, v1, s7
	global_load_u8 v8, v3, s[4:5]
	global_load_b32 v6, v[6:7], off
	s_wait_alu 0xfffd
	v_add_co_ci_u32_e64 v2, null, 0, v2, vcc_lo
	s_wait_loadcnt 0x1
	v_mul_lo_u32 v7, v8, s6
	s_wait_loadcnt 0x0
	v_lshrrev_b16 v8, 8, v6
	v_lshrrev_b32_e32 v9, 24, v6
	v_lshrrev_b32_e32 v10, 16, v6
	s_delay_alu instid0(VALU_DEP_4) | instskip(NEXT) | instid1(VALU_DEP_4)
	v_add_nc_u16 v6, v7, v6
	v_add_nc_u16 v8, v7, v8
	s_delay_alu instid0(VALU_DEP_4) | instskip(NEXT) | instid1(VALU_DEP_4)
	v_add_nc_u16 v9, v7, v9
	v_add_nc_u16 v7, v7, v10
	s_delay_alu instid0(VALU_DEP_4) | instskip(NEXT) | instid1(VALU_DEP_4)
	v_and_b32_e32 v10, 0xff, v6
	v_lshlrev_b16 v11, 8, v8
	s_delay_alu instid0(VALU_DEP_4) | instskip(NEXT) | instid1(VALU_DEP_4)
	v_lshlrev_b16 v12, 8, v9
	v_and_b32_e32 v7, 0xff, v7
	v_lshlrev_b64_e32 v[8:9], 2, v[1:2]
	v_add_co_u32 v6, vcc_lo, s14, v4
	v_or_b32_e32 v10, v10, v11
	s_delay_alu instid0(VALU_DEP_4)
	v_or_b32_e32 v11, v7, v12
	s_wait_alu 0xfffd
	v_add_co_ci_u32_e64 v7, null, s15, v5, vcc_lo
	v_cmp_le_i64_e32 vcc_lo, s[8:9], v[8:9]
	v_and_b32_e32 v10, 0xffff, v10
	v_lshlrev_b32_e32 v11, 16, v11
	v_add_co_u32 v4, s2, v4, s19
	s_wait_alu 0xf1ff
	v_add_co_ci_u32_e64 v5, null, 0, v5, s2
	s_delay_alu instid0(VALU_DEP_3)
	v_or_b32_e32 v8, v10, v11
	s_or_b32 s18, vcc_lo, s18
	global_store_b32 v[6:7], v8, off
	s_wait_alu 0xfffe
	s_and_not1_b32 exec_lo, exec_lo, s18
	s_cbranch_execnz .LBB12_3
.LBB12_4:
	s_or_b32 exec_lo, exec_lo, s3
	s_mov_b32 s2, 0
.LBB12_5:
	s_wait_alu 0xfffe
	s_and_not1_b32 vcc_lo, exec_lo, s2
	s_wait_alu 0xfffe
	s_cbranch_vccnz .LBB12_25
; %bb.6:
	v_cmp_lt_i64_e64 s2, s[10:11], 1
	s_and_b32 vcc_lo, exec_lo, s2
	s_wait_alu 0xfffe
	s_cbranch_vccnz .LBB12_25
; %bb.7:
	s_load_b32 s0, s[0:1], 0xc6c
	v_cmp_gt_i64_e64 s2, 0x10000, s[10:11]
	v_cmp_gt_u64_e64 s7, 0x10000, s[10:11]
	s_mov_b32 s1, 0
	v_add_co_u32 v16, s3, s16, v0
	s_wait_alu 0xf1ff
	v_add_co_ci_u32_e64 v17, null, s17, 0, s3
	s_and_b32 s2, s2, exec_lo
	s_cselect_b32 s9, s11, 0
	s_cselect_b32 s8, s10, 0x10000
	s_mov_b32 s3, s1
	v_add_co_u32 v2, vcc_lo, s12, v16
	s_wait_alu 0xfffd
	v_add_co_ci_u32_e64 v3, null, s13, v17, vcc_lo
	v_add_co_u32 v4, vcc_lo, s14, v16
	s_wait_alu 0xfffd
	v_add_co_ci_u32_e64 v5, null, s15, v17, vcc_lo
	s_wait_kmcnt 0x0
	s_and_b32 s20, s0, 0xffff
	s_and_b32 s0, s7, exec_lo
	s_mul_i32 s2, s20, 3
	s_cselect_b32 s11, s11, 0
	s_wait_alu 0xfffe
	s_add_nc_u64 s[18:19], s[16:17], s[2:3]
	s_cselect_b32 s10, s10, 0x10000
	s_lshl_b32 s0, s20, 1
	s_wait_alu 0xfffe
	v_add_co_u32 v8, s3, s18, v0
	s_wait_alu 0xf1ff
	v_add_co_ci_u32_e64 v9, null, s19, 0, s3
	s_add_nc_u64 s[16:17], s[16:17], s[0:1]
	v_add_co_u32 v6, vcc_lo, s12, v8
	s_wait_alu 0xfffe
	v_add_co_u32 v14, s3, s16, v0
	s_wait_alu 0xf1ff
	v_add_co_ci_u32_e64 v15, null, s17, 0, s3
	s_wait_alu 0xfffd
	v_add_co_ci_u32_e64 v7, null, s13, v9, vcc_lo
	v_add_co_u32 v8, vcc_lo, s14, v8
	s_wait_alu 0xfffd
	v_add_co_ci_u32_e64 v9, null, s15, v9, vcc_lo
	v_add_co_u32 v12, vcc_lo, s12, v14
	;; [unrolled: 3-line block ×4, first 2 shown]
	s_wait_alu 0xfffd
	v_add_co_ci_u32_e64 v21, null, 0, v17, vcc_lo
	v_add_co_u32 v16, s0, s0, v0
	s_delay_alu instid0(VALU_DEP_3)
	v_add_co_u32 v18, vcc_lo, s12, v20
	v_add_co_u32 v10, s2, s2, v0
	s_wait_alu 0xf1ff
	v_add_co_ci_u32_e64 v17, null, 0, 0, s0
	s_wait_alu 0xfffd
	v_add_co_ci_u32_e64 v19, null, s13, v21, vcc_lo
	v_add_co_u32 v20, vcc_lo, s14, v20
	v_add_co_u32 v22, s0, v0, s20
	v_mov_b32_e32 v1, 0
	v_add_co_ci_u32_e64 v11, null, 0, 0, s2
	s_wait_alu 0xfffd
	v_add_co_ci_u32_e64 v21, null, s15, v21, vcc_lo
	s_wait_alu 0xf1ff
	v_add_co_ci_u32_e64 v23, null, 0, 0, s0
	s_lshl_b32 s12, s20, 2
	s_mov_b32 s13, s1
	s_mov_b64 s[14:15], 0
	s_branch .LBB12_9
.LBB12_8:                               ;   in Loop: Header=BB12_9 Depth=1
	s_wait_alu 0xfffe
	s_or_b32 exec_lo, exec_lo, s0
	s_add_nc_u64 s[14:15], s[14:15], s[12:13]
	s_wait_alu 0xfffe
	v_cmp_ge_i64_e64 s0, s[14:15], s[8:9]
	s_and_b32 vcc_lo, exec_lo, s0
	s_wait_alu 0xfffe
	s_cbranch_vccnz .LBB12_25
.LBB12_9:                               ; =>This Inner Loop Header: Depth=1
	s_wait_alu 0xfffe
	v_add_co_u32 v24, s0, v0, s14
	s_wait_alu 0xf1ff
	v_add_co_ci_u32_e64 v25, null, 0, s15, s0
	s_delay_alu instid0(VALU_DEP_1)
	v_cmp_gt_u64_e32 vcc_lo, s[10:11], v[24:25]
	v_mov_b32_e32 v24, 0
	s_and_saveexec_b32 s1, vcc_lo
	s_cbranch_execz .LBB12_11
; %bb.10:                               ;   in Loop: Header=BB12_9 Depth=1
	v_add_co_u32 v24, s0, v2, s14
	s_wait_alu 0xf1ff
	v_add_co_ci_u32_e64 v25, null, s15, v3, s0
	global_load_u8 v24, v[24:25], off
.LBB12_11:                              ;   in Loop: Header=BB12_9 Depth=1
	s_wait_alu 0xfffe
	s_or_b32 exec_lo, exec_lo, s1
	v_add_co_u32 v25, s0, v22, s14
	s_wait_alu 0xf1ff
	v_add_co_ci_u32_e64 v26, null, s15, v23, s0
	s_delay_alu instid0(VALU_DEP_1)
	v_cmp_gt_u64_e64 s0, s[10:11], v[25:26]
	v_dual_mov_b32 v25, 0 :: v_dual_mov_b32 v26, 0
	s_and_saveexec_b32 s2, s0
	s_cbranch_execz .LBB12_13
; %bb.12:                               ;   in Loop: Header=BB12_9 Depth=1
	v_add_co_u32 v26, s1, v18, s14
	s_wait_alu 0xf1ff
	v_add_co_ci_u32_e64 v27, null, s15, v19, s1
	global_load_u8 v26, v[26:27], off
.LBB12_13:                              ;   in Loop: Header=BB12_9 Depth=1
	s_wait_alu 0xfffe
	s_or_b32 exec_lo, exec_lo, s2
	v_add_co_u32 v27, s1, v16, s14
	s_wait_alu 0xf1ff
	v_add_co_ci_u32_e64 v28, null, s15, v17, s1
	s_delay_alu instid0(VALU_DEP_1)
	v_cmp_gt_u64_e64 s1, s[10:11], v[27:28]
	s_and_saveexec_b32 s3, s1
	s_cbranch_execz .LBB12_15
; %bb.14:                               ;   in Loop: Header=BB12_9 Depth=1
	v_add_co_u32 v27, s2, v12, s14
	s_wait_alu 0xf1ff
	v_add_co_ci_u32_e64 v28, null, s15, v13, s2
	global_load_u8 v25, v[27:28], off
.LBB12_15:                              ;   in Loop: Header=BB12_9 Depth=1
	s_wait_alu 0xfffe
	s_or_b32 exec_lo, exec_lo, s3
	v_add_co_u32 v27, s2, v10, s14
	s_wait_alu 0xf1ff
	v_add_co_ci_u32_e64 v28, null, s15, v11, s2
	s_delay_alu instid0(VALU_DEP_1)
	v_cmp_gt_u64_e64 s2, s[10:11], v[27:28]
	v_mov_b32_e32 v27, 0
	s_and_saveexec_b32 s7, s2
	s_cbranch_execz .LBB12_17
; %bb.16:                               ;   in Loop: Header=BB12_9 Depth=1
	v_add_co_u32 v27, s3, v6, s14
	s_wait_alu 0xf1ff
	v_add_co_ci_u32_e64 v28, null, s15, v7, s3
	global_load_u8 v27, v[27:28], off
.LBB12_17:                              ;   in Loop: Header=BB12_9 Depth=1
	s_wait_alu 0xfffe
	s_or_b32 exec_lo, exec_lo, s7
	global_load_u8 v28, v1, s[4:5]
	s_wait_loadcnt 0x0
	v_mul_lo_u32 v28, v28, s6
	s_delay_alu instid0(VALU_DEP_1) | instskip(SKIP_3) | instid1(VALU_DEP_4)
	v_add_nc_u16 v26, v28, v26
	v_add_nc_u16 v24, v28, v24
	;; [unrolled: 1-line block ×4, first 2 shown]
	v_lshlrev_b16 v26, 8, v26
	s_delay_alu instid0(VALU_DEP_4) | instskip(NEXT) | instid1(VALU_DEP_4)
	v_and_b32_e32 v24, 0xff, v24
	v_lshlrev_b16 v27, 8, v27
	s_delay_alu instid0(VALU_DEP_4) | instskip(NEXT) | instid1(VALU_DEP_3)
	v_and_b32_e32 v25, 0xff, v25
	v_or_b32_e32 v24, v24, v26
	s_delay_alu instid0(VALU_DEP_2) | instskip(NEXT) | instid1(VALU_DEP_2)
	v_or_b32_e32 v25, v25, v27
	v_and_b32_e32 v24, 0xffff, v24
	s_delay_alu instid0(VALU_DEP_2) | instskip(NEXT) | instid1(VALU_DEP_1)
	v_lshlrev_b32_e32 v25, 16, v25
	v_or_b32_e32 v24, v24, v25
	s_and_saveexec_b32 s3, vcc_lo
	s_cbranch_execnz .LBB12_21
; %bb.18:                               ;   in Loop: Header=BB12_9 Depth=1
	s_wait_alu 0xfffe
	s_or_b32 exec_lo, exec_lo, s3
	s_and_saveexec_b32 s3, s0
	s_cbranch_execnz .LBB12_22
.LBB12_19:                              ;   in Loop: Header=BB12_9 Depth=1
	s_wait_alu 0xfffe
	s_or_b32 exec_lo, exec_lo, s3
	s_and_saveexec_b32 s0, s1
	s_cbranch_execnz .LBB12_23
.LBB12_20:                              ;   in Loop: Header=BB12_9 Depth=1
	s_wait_alu 0xfffe
	s_or_b32 exec_lo, exec_lo, s0
	s_and_saveexec_b32 s0, s2
	s_cbranch_execz .LBB12_8
	s_branch .LBB12_24
.LBB12_21:                              ;   in Loop: Header=BB12_9 Depth=1
	v_add_co_u32 v25, vcc_lo, v4, s14
	s_wait_alu 0xfffd
	v_add_co_ci_u32_e64 v26, null, s15, v5, vcc_lo
	global_store_b8 v[25:26], v24, off
	s_wait_alu 0xfffe
	s_or_b32 exec_lo, exec_lo, s3
	s_and_saveexec_b32 s3, s0
	s_cbranch_execz .LBB12_19
.LBB12_22:                              ;   in Loop: Header=BB12_9 Depth=1
	v_add_co_u32 v25, vcc_lo, v20, s14
	s_wait_alu 0xfffd
	v_add_co_ci_u32_e64 v26, null, s15, v21, vcc_lo
	v_lshrrev_b32_e32 v27, 8, v24
	global_store_b8 v[25:26], v27, off
	s_wait_alu 0xfffe
	s_or_b32 exec_lo, exec_lo, s3
	s_and_saveexec_b32 s0, s1
	s_cbranch_execz .LBB12_20
.LBB12_23:                              ;   in Loop: Header=BB12_9 Depth=1
	v_add_co_u32 v25, vcc_lo, v14, s14
	s_wait_alu 0xfffd
	v_add_co_ci_u32_e64 v26, null, s15, v15, vcc_lo
	global_store_d16_hi_b8 v[25:26], v24, off
	s_wait_alu 0xfffe
	s_or_b32 exec_lo, exec_lo, s0
	s_and_saveexec_b32 s0, s2
	s_cbranch_execz .LBB12_8
.LBB12_24:                              ;   in Loop: Header=BB12_9 Depth=1
	v_add_co_u32 v25, vcc_lo, v8, s14
	s_wait_alu 0xfffd
	v_add_co_ci_u32_e64 v26, null, s15, v9, vcc_lo
	v_lshrrev_b32_e32 v24, 24, v24
	global_store_b8 v[25:26], v24, off
	s_branch .LBB12_8
.LBB12_25:
	s_endpgm
	.section	.rodata,"a",@progbits
	.p2align	6, 0x0
	.amdhsa_kernel _ZN2at6native12_GLOBAL__N_125multi_tensor_apply_kernelINS1_18TensorListMetadataILi2EEENS1_27BinaryOpScalarTensorFunctorIhLi2ELi1ELi1EEEJSt4plusIhEPhhEEEvT_T0_DpT1_
		.amdhsa_group_segment_fixed_size 0
		.amdhsa_private_segment_fixed_size 0
		.amdhsa_kernarg_size 3424
		.amdhsa_user_sgpr_count 2
		.amdhsa_user_sgpr_dispatch_ptr 0
		.amdhsa_user_sgpr_queue_ptr 0
		.amdhsa_user_sgpr_kernarg_segment_ptr 1
		.amdhsa_user_sgpr_dispatch_id 0
		.amdhsa_user_sgpr_private_segment_size 0
		.amdhsa_wavefront_size32 1
		.amdhsa_uses_dynamic_stack 0
		.amdhsa_enable_private_segment 0
		.amdhsa_system_sgpr_workgroup_id_x 1
		.amdhsa_system_sgpr_workgroup_id_y 0
		.amdhsa_system_sgpr_workgroup_id_z 0
		.amdhsa_system_sgpr_workgroup_info 0
		.amdhsa_system_vgpr_workitem_id 0
		.amdhsa_next_free_vgpr 29
		.amdhsa_next_free_sgpr 21
		.amdhsa_reserve_vcc 1
		.amdhsa_float_round_mode_32 0
		.amdhsa_float_round_mode_16_64 0
		.amdhsa_float_denorm_mode_32 3
		.amdhsa_float_denorm_mode_16_64 3
		.amdhsa_fp16_overflow 0
		.amdhsa_workgroup_processor_mode 1
		.amdhsa_memory_ordered 1
		.amdhsa_forward_progress 1
		.amdhsa_inst_pref_size 14
		.amdhsa_round_robin_scheduling 0
		.amdhsa_exception_fp_ieee_invalid_op 0
		.amdhsa_exception_fp_denorm_src 0
		.amdhsa_exception_fp_ieee_div_zero 0
		.amdhsa_exception_fp_ieee_overflow 0
		.amdhsa_exception_fp_ieee_underflow 0
		.amdhsa_exception_fp_ieee_inexact 0
		.amdhsa_exception_int_div_zero 0
	.end_amdhsa_kernel
	.section	.text._ZN2at6native12_GLOBAL__N_125multi_tensor_apply_kernelINS1_18TensorListMetadataILi2EEENS1_27BinaryOpScalarTensorFunctorIhLi2ELi1ELi1EEEJSt4plusIhEPhhEEEvT_T0_DpT1_,"axG",@progbits,_ZN2at6native12_GLOBAL__N_125multi_tensor_apply_kernelINS1_18TensorListMetadataILi2EEENS1_27BinaryOpScalarTensorFunctorIhLi2ELi1ELi1EEEJSt4plusIhEPhhEEEvT_T0_DpT1_,comdat
.Lfunc_end12:
	.size	_ZN2at6native12_GLOBAL__N_125multi_tensor_apply_kernelINS1_18TensorListMetadataILi2EEENS1_27BinaryOpScalarTensorFunctorIhLi2ELi1ELi1EEEJSt4plusIhEPhhEEEvT_T0_DpT1_, .Lfunc_end12-_ZN2at6native12_GLOBAL__N_125multi_tensor_apply_kernelINS1_18TensorListMetadataILi2EEENS1_27BinaryOpScalarTensorFunctorIhLi2ELi1ELi1EEEJSt4plusIhEPhhEEEvT_T0_DpT1_
                                        ; -- End function
	.set _ZN2at6native12_GLOBAL__N_125multi_tensor_apply_kernelINS1_18TensorListMetadataILi2EEENS1_27BinaryOpScalarTensorFunctorIhLi2ELi1ELi1EEEJSt4plusIhEPhhEEEvT_T0_DpT1_.num_vgpr, 29
	.set _ZN2at6native12_GLOBAL__N_125multi_tensor_apply_kernelINS1_18TensorListMetadataILi2EEENS1_27BinaryOpScalarTensorFunctorIhLi2ELi1ELi1EEEJSt4plusIhEPhhEEEvT_T0_DpT1_.num_agpr, 0
	.set _ZN2at6native12_GLOBAL__N_125multi_tensor_apply_kernelINS1_18TensorListMetadataILi2EEENS1_27BinaryOpScalarTensorFunctorIhLi2ELi1ELi1EEEJSt4plusIhEPhhEEEvT_T0_DpT1_.numbered_sgpr, 21
	.set _ZN2at6native12_GLOBAL__N_125multi_tensor_apply_kernelINS1_18TensorListMetadataILi2EEENS1_27BinaryOpScalarTensorFunctorIhLi2ELi1ELi1EEEJSt4plusIhEPhhEEEvT_T0_DpT1_.num_named_barrier, 0
	.set _ZN2at6native12_GLOBAL__N_125multi_tensor_apply_kernelINS1_18TensorListMetadataILi2EEENS1_27BinaryOpScalarTensorFunctorIhLi2ELi1ELi1EEEJSt4plusIhEPhhEEEvT_T0_DpT1_.private_seg_size, 0
	.set _ZN2at6native12_GLOBAL__N_125multi_tensor_apply_kernelINS1_18TensorListMetadataILi2EEENS1_27BinaryOpScalarTensorFunctorIhLi2ELi1ELi1EEEJSt4plusIhEPhhEEEvT_T0_DpT1_.uses_vcc, 1
	.set _ZN2at6native12_GLOBAL__N_125multi_tensor_apply_kernelINS1_18TensorListMetadataILi2EEENS1_27BinaryOpScalarTensorFunctorIhLi2ELi1ELi1EEEJSt4plusIhEPhhEEEvT_T0_DpT1_.uses_flat_scratch, 0
	.set _ZN2at6native12_GLOBAL__N_125multi_tensor_apply_kernelINS1_18TensorListMetadataILi2EEENS1_27BinaryOpScalarTensorFunctorIhLi2ELi1ELi1EEEJSt4plusIhEPhhEEEvT_T0_DpT1_.has_dyn_sized_stack, 0
	.set _ZN2at6native12_GLOBAL__N_125multi_tensor_apply_kernelINS1_18TensorListMetadataILi2EEENS1_27BinaryOpScalarTensorFunctorIhLi2ELi1ELi1EEEJSt4plusIhEPhhEEEvT_T0_DpT1_.has_recursion, 0
	.set _ZN2at6native12_GLOBAL__N_125multi_tensor_apply_kernelINS1_18TensorListMetadataILi2EEENS1_27BinaryOpScalarTensorFunctorIhLi2ELi1ELi1EEEJSt4plusIhEPhhEEEvT_T0_DpT1_.has_indirect_call, 0
	.section	.AMDGPU.csdata,"",@progbits
; Kernel info:
; codeLenInByte = 1776
; TotalNumSgprs: 23
; NumVgprs: 29
; ScratchSize: 0
; MemoryBound: 0
; FloatMode: 240
; IeeeMode: 1
; LDSByteSize: 0 bytes/workgroup (compile time only)
; SGPRBlocks: 0
; VGPRBlocks: 3
; NumSGPRsForWavesPerEU: 23
; NumVGPRsForWavesPerEU: 29
; Occupancy: 16
; WaveLimiterHint : 0
; COMPUTE_PGM_RSRC2:SCRATCH_EN: 0
; COMPUTE_PGM_RSRC2:USER_SGPR: 2
; COMPUTE_PGM_RSRC2:TRAP_HANDLER: 0
; COMPUTE_PGM_RSRC2:TGID_X_EN: 1
; COMPUTE_PGM_RSRC2:TGID_Y_EN: 0
; COMPUTE_PGM_RSRC2:TGID_Z_EN: 0
; COMPUTE_PGM_RSRC2:TIDIG_COMP_CNT: 0
	.section	.text._ZN2at6native12_GLOBAL__N_125multi_tensor_apply_kernelINS1_18TensorListMetadataILi2EEENS1_27BinaryOpScalarTensorFunctorIaLi2ELi1ELi1EEEJSt4plusIaEPaaEEEvT_T0_DpT1_,"axG",@progbits,_ZN2at6native12_GLOBAL__N_125multi_tensor_apply_kernelINS1_18TensorListMetadataILi2EEENS1_27BinaryOpScalarTensorFunctorIaLi2ELi1ELi1EEEJSt4plusIaEPaaEEEvT_T0_DpT1_,comdat
	.globl	_ZN2at6native12_GLOBAL__N_125multi_tensor_apply_kernelINS1_18TensorListMetadataILi2EEENS1_27BinaryOpScalarTensorFunctorIaLi2ELi1ELi1EEEJSt4plusIaEPaaEEEvT_T0_DpT1_ ; -- Begin function _ZN2at6native12_GLOBAL__N_125multi_tensor_apply_kernelINS1_18TensorListMetadataILi2EEENS1_27BinaryOpScalarTensorFunctorIaLi2ELi1ELi1EEEJSt4plusIaEPaaEEEvT_T0_DpT1_
	.p2align	8
	.type	_ZN2at6native12_GLOBAL__N_125multi_tensor_apply_kernelINS1_18TensorListMetadataILi2EEENS1_27BinaryOpScalarTensorFunctorIaLi2ELi1ELi1EEEJSt4plusIaEPaaEEEvT_T0_DpT1_,@function
_ZN2at6native12_GLOBAL__N_125multi_tensor_apply_kernelINS1_18TensorListMetadataILi2EEENS1_27BinaryOpScalarTensorFunctorIaLi2ELi1ELi1EEEJSt4plusIaEPaaEEEvT_T0_DpT1_: ; @_ZN2at6native12_GLOBAL__N_125multi_tensor_apply_kernelINS1_18TensorListMetadataILi2EEENS1_27BinaryOpScalarTensorFunctorIaLi2ELi1ELi1EEEJSt4plusIaEPaaEEEvT_T0_DpT1_
; %bb.0:
	s_mov_b32 s2, ttmp9
	s_mov_b32 s3, 0
	s_delay_alu instid0(SALU_CYCLE_1) | instskip(SKIP_1) | instid1(SALU_CYCLE_1)
	s_mul_u64 s[4:5], s[2:3], 3
	s_add_nc_u64 s[2:3], s[0:1], s[2:3]
	s_add_nc_u64 s[2:3], s[2:3], s[4:5]
	s_clause 0x1
	s_load_b32 s2, s[2:3], 0x740
	s_load_u8 s3, s[0:1], ttmp9 offset:0x600
	s_wait_kmcnt 0x0
	s_lshl_b32 s3, s3, 3
	s_clause 0x3
	s_load_b64 s[8:9], s[0:1], s3 offset:0x400
	s_load_b64 s[12:13], s[0:1], s3 offset:0x0
	;; [unrolled: 1-line block ×3, first 2 shown]
	s_load_b96 s[4:6], s[0:1], 0xc50
	s_ashr_i32 s3, s2, 31
	s_delay_alu instid0(SALU_CYCLE_1) | instskip(SKIP_4) | instid1(SALU_CYCLE_1)
	s_lshl_b64 s[16:17], s[2:3], 16
	s_wait_kmcnt 0x0
	s_sub_nc_u64 s[10:11], s[8:9], s[16:17]
	s_add_nc_u64 s[2:3], s[12:13], s[16:17]
	s_or_b32 s3, s8, s14
	s_or_b32 s2, s3, s2
	s_delay_alu instid0(SALU_CYCLE_1) | instskip(NEXT) | instid1(SALU_CYCLE_1)
	s_and_b32 s2, s2, 3
	s_cmp_eq_u32 s2, 0
	s_mov_b32 s2, -1
	s_cbranch_scc0 .LBB13_5
; %bb.1:
	v_cmp_gt_i64_e64 s2, 0x10000, s[10:11]
	v_dual_mov_b32 v3, 0 :: v_dual_lshlrev_b32 v2, 2, v0
	s_mov_b32 s3, exec_lo
	s_and_b32 s2, s2, exec_lo
	s_cselect_b32 s9, s11, 0
	s_cselect_b32 s8, s10, 0x10000
	s_delay_alu instid0(SALU_CYCLE_1)
	v_cmpx_gt_i64_e64 s[8:9], v[2:3]
	s_cbranch_execz .LBB13_4
; %bb.2:
	s_load_b32 s2, s[0:1], 0xc6c
	v_mov_b32_e32 v1, v3
	v_add_co_u32 v4, s7, s16, v2
	s_delay_alu instid0(VALU_DEP_1) | instskip(NEXT) | instid1(VALU_DEP_3)
	v_add_co_ci_u32_e64 v5, null, s17, 0, s7
	v_mov_b32_e32 v2, v1
	v_mov_b32_e32 v1, v0
	s_mov_b32 s18, 0
	s_wait_kmcnt 0x0
	s_and_b32 s7, s2, 0xffff
	s_wait_alu 0xfffe
	s_lshl_b32 s19, s7, 2
.LBB13_3:                               ; =>This Inner Loop Header: Depth=1
	v_add_co_u32 v6, vcc_lo, s12, v4
	s_wait_alu 0xfffd
	v_add_co_ci_u32_e64 v7, null, s13, v5, vcc_lo
	v_add_co_u32 v1, vcc_lo, v1, s7
	global_load_u8 v8, v3, s[4:5]
	global_load_b32 v6, v[6:7], off
	s_wait_alu 0xfffd
	v_add_co_ci_u32_e64 v2, null, 0, v2, vcc_lo
	s_wait_loadcnt 0x1
	v_mul_lo_u32 v7, v8, s6
	s_wait_loadcnt 0x0
	v_lshrrev_b16 v8, 8, v6
	v_lshrrev_b32_e32 v9, 24, v6
	v_lshrrev_b32_e32 v10, 16, v6
	s_delay_alu instid0(VALU_DEP_4) | instskip(NEXT) | instid1(VALU_DEP_4)
	v_add_nc_u16 v6, v7, v6
	v_add_nc_u16 v8, v7, v8
	s_delay_alu instid0(VALU_DEP_4) | instskip(NEXT) | instid1(VALU_DEP_4)
	v_add_nc_u16 v9, v7, v9
	v_add_nc_u16 v7, v7, v10
	s_delay_alu instid0(VALU_DEP_4) | instskip(NEXT) | instid1(VALU_DEP_4)
	v_and_b32_e32 v10, 0xff, v6
	v_lshlrev_b16 v11, 8, v8
	s_delay_alu instid0(VALU_DEP_4) | instskip(NEXT) | instid1(VALU_DEP_4)
	v_lshlrev_b16 v12, 8, v9
	v_and_b32_e32 v7, 0xff, v7
	v_lshlrev_b64_e32 v[8:9], 2, v[1:2]
	v_add_co_u32 v6, vcc_lo, s14, v4
	v_or_b32_e32 v10, v10, v11
	s_delay_alu instid0(VALU_DEP_4)
	v_or_b32_e32 v11, v7, v12
	s_wait_alu 0xfffd
	v_add_co_ci_u32_e64 v7, null, s15, v5, vcc_lo
	v_cmp_le_i64_e32 vcc_lo, s[8:9], v[8:9]
	v_and_b32_e32 v10, 0xffff, v10
	v_lshlrev_b32_e32 v11, 16, v11
	v_add_co_u32 v4, s2, v4, s19
	s_wait_alu 0xf1ff
	v_add_co_ci_u32_e64 v5, null, 0, v5, s2
	s_delay_alu instid0(VALU_DEP_3)
	v_or_b32_e32 v8, v10, v11
	s_or_b32 s18, vcc_lo, s18
	global_store_b32 v[6:7], v8, off
	s_wait_alu 0xfffe
	s_and_not1_b32 exec_lo, exec_lo, s18
	s_cbranch_execnz .LBB13_3
.LBB13_4:
	s_or_b32 exec_lo, exec_lo, s3
	s_mov_b32 s2, 0
.LBB13_5:
	s_wait_alu 0xfffe
	s_and_not1_b32 vcc_lo, exec_lo, s2
	s_wait_alu 0xfffe
	s_cbranch_vccnz .LBB13_25
; %bb.6:
	v_cmp_lt_i64_e64 s2, s[10:11], 1
	s_and_b32 vcc_lo, exec_lo, s2
	s_wait_alu 0xfffe
	s_cbranch_vccnz .LBB13_25
; %bb.7:
	s_load_b32 s0, s[0:1], 0xc6c
	v_cmp_gt_i64_e64 s2, 0x10000, s[10:11]
	v_cmp_gt_u64_e64 s7, 0x10000, s[10:11]
	s_mov_b32 s1, 0
	v_add_co_u32 v16, s3, s16, v0
	s_wait_alu 0xf1ff
	v_add_co_ci_u32_e64 v17, null, s17, 0, s3
	s_and_b32 s2, s2, exec_lo
	s_cselect_b32 s9, s11, 0
	s_cselect_b32 s8, s10, 0x10000
	s_mov_b32 s3, s1
	v_add_co_u32 v2, vcc_lo, s12, v16
	s_wait_alu 0xfffd
	v_add_co_ci_u32_e64 v3, null, s13, v17, vcc_lo
	v_add_co_u32 v4, vcc_lo, s14, v16
	s_wait_alu 0xfffd
	v_add_co_ci_u32_e64 v5, null, s15, v17, vcc_lo
	s_wait_kmcnt 0x0
	s_and_b32 s20, s0, 0xffff
	s_and_b32 s0, s7, exec_lo
	s_mul_i32 s2, s20, 3
	s_cselect_b32 s11, s11, 0
	s_wait_alu 0xfffe
	s_add_nc_u64 s[18:19], s[16:17], s[2:3]
	s_cselect_b32 s10, s10, 0x10000
	s_lshl_b32 s0, s20, 1
	s_wait_alu 0xfffe
	v_add_co_u32 v8, s3, s18, v0
	s_wait_alu 0xf1ff
	v_add_co_ci_u32_e64 v9, null, s19, 0, s3
	s_add_nc_u64 s[16:17], s[16:17], s[0:1]
	v_add_co_u32 v6, vcc_lo, s12, v8
	s_wait_alu 0xfffe
	v_add_co_u32 v14, s3, s16, v0
	s_wait_alu 0xf1ff
	v_add_co_ci_u32_e64 v15, null, s17, 0, s3
	s_wait_alu 0xfffd
	v_add_co_ci_u32_e64 v7, null, s13, v9, vcc_lo
	v_add_co_u32 v8, vcc_lo, s14, v8
	s_wait_alu 0xfffd
	v_add_co_ci_u32_e64 v9, null, s15, v9, vcc_lo
	v_add_co_u32 v12, vcc_lo, s12, v14
	;; [unrolled: 3-line block ×4, first 2 shown]
	s_wait_alu 0xfffd
	v_add_co_ci_u32_e64 v21, null, 0, v17, vcc_lo
	v_add_co_u32 v16, s0, s0, v0
	s_delay_alu instid0(VALU_DEP_3)
	v_add_co_u32 v18, vcc_lo, s12, v20
	v_add_co_u32 v10, s2, s2, v0
	s_wait_alu 0xf1ff
	v_add_co_ci_u32_e64 v17, null, 0, 0, s0
	s_wait_alu 0xfffd
	v_add_co_ci_u32_e64 v19, null, s13, v21, vcc_lo
	v_add_co_u32 v20, vcc_lo, s14, v20
	v_add_co_u32 v22, s0, v0, s20
	v_mov_b32_e32 v1, 0
	v_add_co_ci_u32_e64 v11, null, 0, 0, s2
	s_wait_alu 0xfffd
	v_add_co_ci_u32_e64 v21, null, s15, v21, vcc_lo
	s_wait_alu 0xf1ff
	v_add_co_ci_u32_e64 v23, null, 0, 0, s0
	s_lshl_b32 s12, s20, 2
	s_mov_b32 s13, s1
	s_mov_b64 s[14:15], 0
	s_branch .LBB13_9
.LBB13_8:                               ;   in Loop: Header=BB13_9 Depth=1
	s_wait_alu 0xfffe
	s_or_b32 exec_lo, exec_lo, s0
	s_add_nc_u64 s[14:15], s[14:15], s[12:13]
	s_wait_alu 0xfffe
	v_cmp_ge_i64_e64 s0, s[14:15], s[8:9]
	s_and_b32 vcc_lo, exec_lo, s0
	s_wait_alu 0xfffe
	s_cbranch_vccnz .LBB13_25
.LBB13_9:                               ; =>This Inner Loop Header: Depth=1
	s_wait_alu 0xfffe
	v_add_co_u32 v24, s0, v0, s14
	s_wait_alu 0xf1ff
	v_add_co_ci_u32_e64 v25, null, 0, s15, s0
	s_delay_alu instid0(VALU_DEP_1)
	v_cmp_gt_u64_e32 vcc_lo, s[10:11], v[24:25]
	v_mov_b32_e32 v24, 0
	s_and_saveexec_b32 s1, vcc_lo
	s_cbranch_execz .LBB13_11
; %bb.10:                               ;   in Loop: Header=BB13_9 Depth=1
	v_add_co_u32 v24, s0, v2, s14
	s_wait_alu 0xf1ff
	v_add_co_ci_u32_e64 v25, null, s15, v3, s0
	global_load_u8 v24, v[24:25], off
.LBB13_11:                              ;   in Loop: Header=BB13_9 Depth=1
	s_wait_alu 0xfffe
	s_or_b32 exec_lo, exec_lo, s1
	v_add_co_u32 v25, s0, v22, s14
	s_wait_alu 0xf1ff
	v_add_co_ci_u32_e64 v26, null, s15, v23, s0
	s_delay_alu instid0(VALU_DEP_1)
	v_cmp_gt_u64_e64 s0, s[10:11], v[25:26]
	v_dual_mov_b32 v25, 0 :: v_dual_mov_b32 v26, 0
	s_and_saveexec_b32 s2, s0
	s_cbranch_execz .LBB13_13
; %bb.12:                               ;   in Loop: Header=BB13_9 Depth=1
	v_add_co_u32 v26, s1, v18, s14
	s_wait_alu 0xf1ff
	v_add_co_ci_u32_e64 v27, null, s15, v19, s1
	global_load_u8 v26, v[26:27], off
.LBB13_13:                              ;   in Loop: Header=BB13_9 Depth=1
	s_wait_alu 0xfffe
	s_or_b32 exec_lo, exec_lo, s2
	v_add_co_u32 v27, s1, v16, s14
	s_wait_alu 0xf1ff
	v_add_co_ci_u32_e64 v28, null, s15, v17, s1
	s_delay_alu instid0(VALU_DEP_1)
	v_cmp_gt_u64_e64 s1, s[10:11], v[27:28]
	s_and_saveexec_b32 s3, s1
	s_cbranch_execz .LBB13_15
; %bb.14:                               ;   in Loop: Header=BB13_9 Depth=1
	v_add_co_u32 v27, s2, v12, s14
	s_wait_alu 0xf1ff
	v_add_co_ci_u32_e64 v28, null, s15, v13, s2
	global_load_u8 v25, v[27:28], off
.LBB13_15:                              ;   in Loop: Header=BB13_9 Depth=1
	s_wait_alu 0xfffe
	s_or_b32 exec_lo, exec_lo, s3
	v_add_co_u32 v27, s2, v10, s14
	s_wait_alu 0xf1ff
	v_add_co_ci_u32_e64 v28, null, s15, v11, s2
	s_delay_alu instid0(VALU_DEP_1)
	v_cmp_gt_u64_e64 s2, s[10:11], v[27:28]
	v_mov_b32_e32 v27, 0
	s_and_saveexec_b32 s7, s2
	s_cbranch_execz .LBB13_17
; %bb.16:                               ;   in Loop: Header=BB13_9 Depth=1
	v_add_co_u32 v27, s3, v6, s14
	s_wait_alu 0xf1ff
	v_add_co_ci_u32_e64 v28, null, s15, v7, s3
	global_load_u8 v27, v[27:28], off
.LBB13_17:                              ;   in Loop: Header=BB13_9 Depth=1
	s_wait_alu 0xfffe
	s_or_b32 exec_lo, exec_lo, s7
	global_load_u8 v28, v1, s[4:5]
	s_wait_loadcnt 0x0
	v_mul_lo_u32 v28, v28, s6
	s_delay_alu instid0(VALU_DEP_1) | instskip(SKIP_3) | instid1(VALU_DEP_4)
	v_add_nc_u16 v26, v28, v26
	v_add_nc_u16 v24, v28, v24
	;; [unrolled: 1-line block ×4, first 2 shown]
	v_lshlrev_b16 v26, 8, v26
	s_delay_alu instid0(VALU_DEP_4) | instskip(NEXT) | instid1(VALU_DEP_4)
	v_and_b32_e32 v24, 0xff, v24
	v_lshlrev_b16 v27, 8, v27
	s_delay_alu instid0(VALU_DEP_4) | instskip(NEXT) | instid1(VALU_DEP_3)
	v_and_b32_e32 v25, 0xff, v25
	v_or_b32_e32 v24, v24, v26
	s_delay_alu instid0(VALU_DEP_2) | instskip(NEXT) | instid1(VALU_DEP_2)
	v_or_b32_e32 v25, v25, v27
	v_and_b32_e32 v24, 0xffff, v24
	s_delay_alu instid0(VALU_DEP_2) | instskip(NEXT) | instid1(VALU_DEP_1)
	v_lshlrev_b32_e32 v25, 16, v25
	v_or_b32_e32 v24, v24, v25
	s_and_saveexec_b32 s3, vcc_lo
	s_cbranch_execnz .LBB13_21
; %bb.18:                               ;   in Loop: Header=BB13_9 Depth=1
	s_wait_alu 0xfffe
	s_or_b32 exec_lo, exec_lo, s3
	s_and_saveexec_b32 s3, s0
	s_cbranch_execnz .LBB13_22
.LBB13_19:                              ;   in Loop: Header=BB13_9 Depth=1
	s_wait_alu 0xfffe
	s_or_b32 exec_lo, exec_lo, s3
	s_and_saveexec_b32 s0, s1
	s_cbranch_execnz .LBB13_23
.LBB13_20:                              ;   in Loop: Header=BB13_9 Depth=1
	s_wait_alu 0xfffe
	s_or_b32 exec_lo, exec_lo, s0
	s_and_saveexec_b32 s0, s2
	s_cbranch_execz .LBB13_8
	s_branch .LBB13_24
.LBB13_21:                              ;   in Loop: Header=BB13_9 Depth=1
	v_add_co_u32 v25, vcc_lo, v4, s14
	s_wait_alu 0xfffd
	v_add_co_ci_u32_e64 v26, null, s15, v5, vcc_lo
	global_store_b8 v[25:26], v24, off
	s_wait_alu 0xfffe
	s_or_b32 exec_lo, exec_lo, s3
	s_and_saveexec_b32 s3, s0
	s_cbranch_execz .LBB13_19
.LBB13_22:                              ;   in Loop: Header=BB13_9 Depth=1
	v_add_co_u32 v25, vcc_lo, v20, s14
	s_wait_alu 0xfffd
	v_add_co_ci_u32_e64 v26, null, s15, v21, vcc_lo
	v_lshrrev_b32_e32 v27, 8, v24
	global_store_b8 v[25:26], v27, off
	s_wait_alu 0xfffe
	s_or_b32 exec_lo, exec_lo, s3
	s_and_saveexec_b32 s0, s1
	s_cbranch_execz .LBB13_20
.LBB13_23:                              ;   in Loop: Header=BB13_9 Depth=1
	v_add_co_u32 v25, vcc_lo, v14, s14
	s_wait_alu 0xfffd
	v_add_co_ci_u32_e64 v26, null, s15, v15, vcc_lo
	global_store_d16_hi_b8 v[25:26], v24, off
	s_wait_alu 0xfffe
	s_or_b32 exec_lo, exec_lo, s0
	s_and_saveexec_b32 s0, s2
	s_cbranch_execz .LBB13_8
.LBB13_24:                              ;   in Loop: Header=BB13_9 Depth=1
	v_add_co_u32 v25, vcc_lo, v8, s14
	s_wait_alu 0xfffd
	v_add_co_ci_u32_e64 v26, null, s15, v9, vcc_lo
	v_lshrrev_b32_e32 v24, 24, v24
	global_store_b8 v[25:26], v24, off
	s_branch .LBB13_8
.LBB13_25:
	s_endpgm
	.section	.rodata,"a",@progbits
	.p2align	6, 0x0
	.amdhsa_kernel _ZN2at6native12_GLOBAL__N_125multi_tensor_apply_kernelINS1_18TensorListMetadataILi2EEENS1_27BinaryOpScalarTensorFunctorIaLi2ELi1ELi1EEEJSt4plusIaEPaaEEEvT_T0_DpT1_
		.amdhsa_group_segment_fixed_size 0
		.amdhsa_private_segment_fixed_size 0
		.amdhsa_kernarg_size 3424
		.amdhsa_user_sgpr_count 2
		.amdhsa_user_sgpr_dispatch_ptr 0
		.amdhsa_user_sgpr_queue_ptr 0
		.amdhsa_user_sgpr_kernarg_segment_ptr 1
		.amdhsa_user_sgpr_dispatch_id 0
		.amdhsa_user_sgpr_private_segment_size 0
		.amdhsa_wavefront_size32 1
		.amdhsa_uses_dynamic_stack 0
		.amdhsa_enable_private_segment 0
		.amdhsa_system_sgpr_workgroup_id_x 1
		.amdhsa_system_sgpr_workgroup_id_y 0
		.amdhsa_system_sgpr_workgroup_id_z 0
		.amdhsa_system_sgpr_workgroup_info 0
		.amdhsa_system_vgpr_workitem_id 0
		.amdhsa_next_free_vgpr 29
		.amdhsa_next_free_sgpr 21
		.amdhsa_reserve_vcc 1
		.amdhsa_float_round_mode_32 0
		.amdhsa_float_round_mode_16_64 0
		.amdhsa_float_denorm_mode_32 3
		.amdhsa_float_denorm_mode_16_64 3
		.amdhsa_fp16_overflow 0
		.amdhsa_workgroup_processor_mode 1
		.amdhsa_memory_ordered 1
		.amdhsa_forward_progress 1
		.amdhsa_inst_pref_size 14
		.amdhsa_round_robin_scheduling 0
		.amdhsa_exception_fp_ieee_invalid_op 0
		.amdhsa_exception_fp_denorm_src 0
		.amdhsa_exception_fp_ieee_div_zero 0
		.amdhsa_exception_fp_ieee_overflow 0
		.amdhsa_exception_fp_ieee_underflow 0
		.amdhsa_exception_fp_ieee_inexact 0
		.amdhsa_exception_int_div_zero 0
	.end_amdhsa_kernel
	.section	.text._ZN2at6native12_GLOBAL__N_125multi_tensor_apply_kernelINS1_18TensorListMetadataILi2EEENS1_27BinaryOpScalarTensorFunctorIaLi2ELi1ELi1EEEJSt4plusIaEPaaEEEvT_T0_DpT1_,"axG",@progbits,_ZN2at6native12_GLOBAL__N_125multi_tensor_apply_kernelINS1_18TensorListMetadataILi2EEENS1_27BinaryOpScalarTensorFunctorIaLi2ELi1ELi1EEEJSt4plusIaEPaaEEEvT_T0_DpT1_,comdat
.Lfunc_end13:
	.size	_ZN2at6native12_GLOBAL__N_125multi_tensor_apply_kernelINS1_18TensorListMetadataILi2EEENS1_27BinaryOpScalarTensorFunctorIaLi2ELi1ELi1EEEJSt4plusIaEPaaEEEvT_T0_DpT1_, .Lfunc_end13-_ZN2at6native12_GLOBAL__N_125multi_tensor_apply_kernelINS1_18TensorListMetadataILi2EEENS1_27BinaryOpScalarTensorFunctorIaLi2ELi1ELi1EEEJSt4plusIaEPaaEEEvT_T0_DpT1_
                                        ; -- End function
	.set _ZN2at6native12_GLOBAL__N_125multi_tensor_apply_kernelINS1_18TensorListMetadataILi2EEENS1_27BinaryOpScalarTensorFunctorIaLi2ELi1ELi1EEEJSt4plusIaEPaaEEEvT_T0_DpT1_.num_vgpr, 29
	.set _ZN2at6native12_GLOBAL__N_125multi_tensor_apply_kernelINS1_18TensorListMetadataILi2EEENS1_27BinaryOpScalarTensorFunctorIaLi2ELi1ELi1EEEJSt4plusIaEPaaEEEvT_T0_DpT1_.num_agpr, 0
	.set _ZN2at6native12_GLOBAL__N_125multi_tensor_apply_kernelINS1_18TensorListMetadataILi2EEENS1_27BinaryOpScalarTensorFunctorIaLi2ELi1ELi1EEEJSt4plusIaEPaaEEEvT_T0_DpT1_.numbered_sgpr, 21
	.set _ZN2at6native12_GLOBAL__N_125multi_tensor_apply_kernelINS1_18TensorListMetadataILi2EEENS1_27BinaryOpScalarTensorFunctorIaLi2ELi1ELi1EEEJSt4plusIaEPaaEEEvT_T0_DpT1_.num_named_barrier, 0
	.set _ZN2at6native12_GLOBAL__N_125multi_tensor_apply_kernelINS1_18TensorListMetadataILi2EEENS1_27BinaryOpScalarTensorFunctorIaLi2ELi1ELi1EEEJSt4plusIaEPaaEEEvT_T0_DpT1_.private_seg_size, 0
	.set _ZN2at6native12_GLOBAL__N_125multi_tensor_apply_kernelINS1_18TensorListMetadataILi2EEENS1_27BinaryOpScalarTensorFunctorIaLi2ELi1ELi1EEEJSt4plusIaEPaaEEEvT_T0_DpT1_.uses_vcc, 1
	.set _ZN2at6native12_GLOBAL__N_125multi_tensor_apply_kernelINS1_18TensorListMetadataILi2EEENS1_27BinaryOpScalarTensorFunctorIaLi2ELi1ELi1EEEJSt4plusIaEPaaEEEvT_T0_DpT1_.uses_flat_scratch, 0
	.set _ZN2at6native12_GLOBAL__N_125multi_tensor_apply_kernelINS1_18TensorListMetadataILi2EEENS1_27BinaryOpScalarTensorFunctorIaLi2ELi1ELi1EEEJSt4plusIaEPaaEEEvT_T0_DpT1_.has_dyn_sized_stack, 0
	.set _ZN2at6native12_GLOBAL__N_125multi_tensor_apply_kernelINS1_18TensorListMetadataILi2EEENS1_27BinaryOpScalarTensorFunctorIaLi2ELi1ELi1EEEJSt4plusIaEPaaEEEvT_T0_DpT1_.has_recursion, 0
	.set _ZN2at6native12_GLOBAL__N_125multi_tensor_apply_kernelINS1_18TensorListMetadataILi2EEENS1_27BinaryOpScalarTensorFunctorIaLi2ELi1ELi1EEEJSt4plusIaEPaaEEEvT_T0_DpT1_.has_indirect_call, 0
	.section	.AMDGPU.csdata,"",@progbits
; Kernel info:
; codeLenInByte = 1776
; TotalNumSgprs: 23
; NumVgprs: 29
; ScratchSize: 0
; MemoryBound: 0
; FloatMode: 240
; IeeeMode: 1
; LDSByteSize: 0 bytes/workgroup (compile time only)
; SGPRBlocks: 0
; VGPRBlocks: 3
; NumSGPRsForWavesPerEU: 23
; NumVGPRsForWavesPerEU: 29
; Occupancy: 16
; WaveLimiterHint : 0
; COMPUTE_PGM_RSRC2:SCRATCH_EN: 0
; COMPUTE_PGM_RSRC2:USER_SGPR: 2
; COMPUTE_PGM_RSRC2:TRAP_HANDLER: 0
; COMPUTE_PGM_RSRC2:TGID_X_EN: 1
; COMPUTE_PGM_RSRC2:TGID_Y_EN: 0
; COMPUTE_PGM_RSRC2:TGID_Z_EN: 0
; COMPUTE_PGM_RSRC2:TIDIG_COMP_CNT: 0
	.section	.text._ZN2at6native12_GLOBAL__N_125multi_tensor_apply_kernelINS1_18TensorListMetadataILi2EEENS1_27BinaryOpScalarTensorFunctorIiLi2ELi1ELi1EEEJSt4plusIiEPiiEEEvT_T0_DpT1_,"axG",@progbits,_ZN2at6native12_GLOBAL__N_125multi_tensor_apply_kernelINS1_18TensorListMetadataILi2EEENS1_27BinaryOpScalarTensorFunctorIiLi2ELi1ELi1EEEJSt4plusIiEPiiEEEvT_T0_DpT1_,comdat
	.globl	_ZN2at6native12_GLOBAL__N_125multi_tensor_apply_kernelINS1_18TensorListMetadataILi2EEENS1_27BinaryOpScalarTensorFunctorIiLi2ELi1ELi1EEEJSt4plusIiEPiiEEEvT_T0_DpT1_ ; -- Begin function _ZN2at6native12_GLOBAL__N_125multi_tensor_apply_kernelINS1_18TensorListMetadataILi2EEENS1_27BinaryOpScalarTensorFunctorIiLi2ELi1ELi1EEEJSt4plusIiEPiiEEEvT_T0_DpT1_
	.p2align	8
	.type	_ZN2at6native12_GLOBAL__N_125multi_tensor_apply_kernelINS1_18TensorListMetadataILi2EEENS1_27BinaryOpScalarTensorFunctorIiLi2ELi1ELi1EEEJSt4plusIiEPiiEEEvT_T0_DpT1_,@function
_ZN2at6native12_GLOBAL__N_125multi_tensor_apply_kernelINS1_18TensorListMetadataILi2EEENS1_27BinaryOpScalarTensorFunctorIiLi2ELi1ELi1EEEJSt4plusIiEPiiEEEvT_T0_DpT1_: ; @_ZN2at6native12_GLOBAL__N_125multi_tensor_apply_kernelINS1_18TensorListMetadataILi2EEENS1_27BinaryOpScalarTensorFunctorIiLi2ELi1ELi1EEEJSt4plusIiEPiiEEEvT_T0_DpT1_
; %bb.0:
	s_mov_b32 s2, ttmp9
	s_mov_b32 s3, 0
	s_delay_alu instid0(SALU_CYCLE_1)
	s_mul_u64 s[4:5], s[2:3], 3
	s_add_nc_u64 s[6:7], s[0:1], s[2:3]
	s_mov_b32 s15, s3
	s_add_nc_u64 s[4:5], s[6:7], s[4:5]
	s_clause 0x1
	s_load_b32 s10, s[4:5], 0x740
	s_load_u8 s2, s[0:1], ttmp9 offset:0x600
	s_mov_b32 s21, s3
	s_wait_kmcnt 0x0
	s_ashr_i32 s11, s10, 31
	s_lshl_b32 s2, s2, 3
	s_clause 0x3
	s_load_b64 s[16:17], s[0:1], s2 offset:0x0
	s_load_b64 s[18:19], s[0:1], s2 offset:0x200
	;; [unrolled: 1-line block ×3, first 2 shown]
	s_load_b96 s[4:6], s[0:1], 0xc50
	s_lshl_b64 s[8:9], s[10:11], 18
	s_lshl_b64 s[10:11], s[10:11], 16
	s_wait_kmcnt 0x0
	s_add_nc_u64 s[22:23], s[16:17], s[8:9]
	s_and_b32 s14, s18, 15
	s_and_b32 s20, s12, 3
	;; [unrolled: 1-line block ×3, first 2 shown]
	s_or_b64 s[14:15], s[14:15], s[20:21]
	s_delay_alu instid0(SALU_CYCLE_1)
	s_or_b64 s[2:3], s[14:15], s[2:3]
	s_sub_nc_u64 s[14:15], s[12:13], s[10:11]
	s_cmp_eq_u64 s[2:3], 0
	s_mov_b32 s2, -1
	s_cbranch_scc0 .LBB14_5
; %bb.1:
	v_cmp_gt_i64_e64 s2, 0x10000, s[14:15]
	v_dual_mov_b32 v2, 0 :: v_dual_lshlrev_b32 v1, 2, v0
	s_mov_b32 s3, exec_lo
	s_and_b32 s2, s2, exec_lo
	s_cselect_b32 s11, s15, 0
	s_cselect_b32 s10, s14, 0x10000
	s_delay_alu instid0(SALU_CYCLE_1)
	v_cmpx_gt_i64_e64 s[10:11], v[1:2]
	s_cbranch_execz .LBB14_4
; %bb.2:
	s_load_b32 s2, s[0:1], 0xc6c
	v_lshlrev_b32_e32 v3, 4, v0
	v_mov_b32_e32 v1, v2
	s_mov_b32 s12, 0
	s_delay_alu instid0(VALU_DEP_2) | instskip(NEXT) | instid1(VALU_DEP_1)
	v_add_co_u32 v5, s7, s8, v3
	v_add_co_ci_u32_e64 v6, null, s9, 0, s7
	s_delay_alu instid0(VALU_DEP_3)
	v_dual_mov_b32 v4, v1 :: v_dual_mov_b32 v3, v0
	s_wait_kmcnt 0x0
	s_and_b32 s7, s2, 0xffff
	s_wait_alu 0xfffe
	s_lshl_b32 s13, s7, 4
.LBB14_3:                               ; =>This Inner Loop Header: Depth=1
	global_load_b32 v1, v2, s[4:5]
	v_add_co_u32 v7, vcc_lo, s16, v5
	s_wait_alu 0xfffd
	v_add_co_ci_u32_e64 v8, null, s17, v6, vcc_lo
	v_add_co_u32 v3, vcc_lo, v3, s7
	s_wait_alu 0xfffd
	v_add_co_ci_u32_e64 v4, null, 0, v4, vcc_lo
	global_load_b128 v[7:10], v[7:8], off
	v_add_co_u32 v11, vcc_lo, s18, v5
	v_lshlrev_b64_e32 v[13:14], 2, v[3:4]
	s_wait_alu 0xfffd
	v_add_co_ci_u32_e64 v12, null, s19, v6, vcc_lo
	v_add_co_u32 v5, vcc_lo, v5, s13
	s_wait_alu 0xfffd
	v_add_co_ci_u32_e64 v6, null, 0, v6, vcc_lo
	v_cmp_le_i64_e64 s2, s[10:11], v[13:14]
	s_or_b32 s12, s2, s12
	s_wait_loadcnt 0x1
	v_mul_lo_u32 v1, v1, s6
	s_wait_loadcnt 0x0
	s_delay_alu instid0(VALU_DEP_1)
	v_add_nc_u32_e32 v7, v1, v7
	v_add_nc_u32_e32 v8, v1, v8
	;; [unrolled: 1-line block ×4, first 2 shown]
	global_store_b128 v[11:12], v[7:10], off
	s_wait_alu 0xfffe
	s_and_not1_b32 exec_lo, exec_lo, s12
	s_cbranch_execnz .LBB14_3
.LBB14_4:
	s_or_b32 exec_lo, exec_lo, s3
	s_mov_b32 s2, 0
.LBB14_5:
	s_delay_alu instid0(SALU_CYCLE_1)
	s_and_not1_b32 vcc_lo, exec_lo, s2
	s_wait_alu 0xfffe
	s_cbranch_vccnz .LBB14_25
; %bb.6:
	v_cmp_lt_i64_e64 s2, s[14:15], 1
	s_and_b32 vcc_lo, exec_lo, s2
	s_wait_alu 0xfffe
	s_cbranch_vccnz .LBB14_25
; %bb.7:
	s_load_b32 s0, s[0:1], 0xc6c
	v_cmp_gt_i64_e64 s1, 0x10000, s[14:15]
	v_dual_mov_b32 v2, 0 :: v_dual_lshlrev_b32 v1, 2, v0
	v_cmp_gt_u64_e64 s2, 0x10000, s[14:15]
	s_mov_b32 s11, 0
	s_and_b32 s1, s1, exec_lo
	v_add_co_u32 v5, s1, s18, v1
	v_add_co_u32 v3, s3, s16, v1
	s_cselect_b32 s13, s15, 0
	s_cselect_b32 s12, s14, 0x10000
	v_add_co_ci_u32_e64 v6, null, s19, 0, s1
	v_add_co_ci_u32_e64 v4, null, s17, 0, s3
	s_wait_kmcnt 0x0
	s_and_b32 s0, s0, 0xffff
	s_and_b32 s1, s2, exec_lo
	s_cselect_b32 s15, s15, 0
	s_cselect_b32 s14, s14, 0x10000
	s_wait_alu 0xfffe
	s_mul_i32 s2, s0, 3
	s_lshl_b32 s3, s0, 3
	v_mad_co_u64_u32 v[9:10], null, s0, 12, v[1:2]
	s_wait_alu 0xfffe
	v_add_co_u32 v15, s3, s3, v1
	v_add_co_u32 v1, s2, s2, v0
	s_wait_alu 0xf1ff
	v_add_co_ci_u32_e64 v11, null, 0, 0, s2
	v_add_co_u32 v14, s2, v0, s0
	s_lshl_b32 s1, s0, 1
	v_add_co_u32 v7, vcc_lo, s16, v9
	v_lshlrev_b32_e32 v22, 2, v14
	v_add_co_ci_u32_e64 v16, null, 0, 0, s3
	s_wait_alu 0xfffd
	v_add_co_ci_u32_e64 v8, null, s17, v10, vcc_lo
	v_add_co_u32 v9, vcc_lo, s18, v9
	s_wait_alu 0xfffe
	v_add_co_u32 v18, s1, s1, v0
	s_wait_alu 0xfffd
	v_add_co_ci_u32_e64 v10, null, s19, v10, vcc_lo
	v_add_co_u32 v12, vcc_lo, s16, v15
	s_wait_alu 0xf1ff
	v_add_co_ci_u32_e64 v19, null, 0, 0, s1
	v_add_co_u32 v20, s1, s16, v22
	s_wait_alu 0xfffd
	v_add_co_ci_u32_e64 v13, null, s17, v16, vcc_lo
	v_add_co_u32 v15, vcc_lo, s18, v15
	s_wait_alu 0xf1ff
	v_add_co_ci_u32_e64 v21, null, s17, 0, s1
	v_add_co_u32 v22, s1, s18, v22
	s_wait_alu 0xfffd
	v_add_co_ci_u32_e64 v16, null, s19, v16, vcc_lo
	v_add_co_ci_u32_e64 v17, null, 0, 0, s2
	s_wait_alu 0xf1ff
	v_add_co_ci_u32_e64 v23, null, s19, 0, s1
	s_lshl_b32 s10, s0, 2
	s_lshl_b32 s7, s0, 4
	s_mov_b64 s[16:17], 0
	s_branch .LBB14_9
.LBB14_8:                               ;   in Loop: Header=BB14_9 Depth=1
	s_wait_alu 0xfffe
	s_or_b32 exec_lo, exec_lo, s0
	v_add_co_u32 v3, vcc_lo, v3, s7
	s_wait_alu 0xfffd
	v_add_co_ci_u32_e64 v4, null, 0, v4, vcc_lo
	v_add_co_u32 v5, vcc_lo, v5, s7
	s_wait_alu 0xfffd
	v_add_co_ci_u32_e64 v6, null, 0, v6, vcc_lo
	;; [unrolled: 3-line block ×5, first 2 shown]
	v_add_co_u32 v15, vcc_lo, v15, s7
	s_add_nc_u64 s[16:17], s[16:17], s[10:11]
	s_wait_alu 0xfffd
	v_add_co_ci_u32_e64 v16, null, 0, v16, vcc_lo
	v_add_co_u32 v20, vcc_lo, v20, s7
	s_wait_alu 0xfffe
	v_cmp_ge_i64_e64 s0, s[16:17], s[12:13]
	s_wait_alu 0xfffd
	v_add_co_ci_u32_e64 v21, null, 0, v21, vcc_lo
	v_add_co_u32 v22, vcc_lo, v22, s7
	s_wait_alu 0xfffd
	v_add_co_ci_u32_e64 v23, null, 0, v23, vcc_lo
	s_and_b32 vcc_lo, exec_lo, s0
	s_wait_alu 0xfffe
	s_cbranch_vccnz .LBB14_25
.LBB14_9:                               ; =>This Inner Loop Header: Depth=1
	s_wait_alu 0xfffe
	v_add_co_u32 v24, s0, v0, s16
	s_wait_alu 0xf1ff
	v_add_co_ci_u32_e64 v25, null, 0, s17, s0
	s_delay_alu instid0(VALU_DEP_1)
	v_cmp_gt_u64_e32 vcc_lo, s[14:15], v[24:25]
	v_mov_b32_e32 v25, 0
	s_and_saveexec_b32 s1, vcc_lo
	s_cbranch_execz .LBB14_11
; %bb.10:                               ;   in Loop: Header=BB14_9 Depth=1
	v_add_co_u32 v24, s0, v3, s8
	s_wait_alu 0xf1ff
	v_add_co_ci_u32_e64 v25, null, s9, v4, s0
	global_load_b32 v25, v[24:25], off
.LBB14_11:                              ;   in Loop: Header=BB14_9 Depth=1
	s_wait_alu 0xfffe
	s_or_b32 exec_lo, exec_lo, s1
	v_add_co_u32 v26, s0, v14, s16
	s_wait_alu 0xf1ff
	v_add_co_ci_u32_e64 v27, null, s17, v17, s0
	v_mov_b32_e32 v24, 0
	s_delay_alu instid0(VALU_DEP_2)
	v_cmp_gt_u64_e64 s0, s[14:15], v[26:27]
	v_mov_b32_e32 v26, 0
	s_and_saveexec_b32 s2, s0
	s_cbranch_execz .LBB14_13
; %bb.12:                               ;   in Loop: Header=BB14_9 Depth=1
	v_add_co_u32 v26, s1, v20, s8
	s_wait_alu 0xf1ff
	v_add_co_ci_u32_e64 v27, null, s9, v21, s1
	global_load_b32 v26, v[26:27], off
.LBB14_13:                              ;   in Loop: Header=BB14_9 Depth=1
	s_wait_alu 0xfffe
	s_or_b32 exec_lo, exec_lo, s2
	v_add_co_u32 v27, s1, v18, s16
	s_wait_alu 0xf1ff
	v_add_co_ci_u32_e64 v28, null, s17, v19, s1
	s_delay_alu instid0(VALU_DEP_1)
	v_cmp_gt_u64_e64 s1, s[14:15], v[27:28]
	s_and_saveexec_b32 s3, s1
	s_cbranch_execz .LBB14_15
; %bb.14:                               ;   in Loop: Header=BB14_9 Depth=1
	v_add_co_u32 v27, s2, v12, s8
	s_wait_alu 0xf1ff
	v_add_co_ci_u32_e64 v28, null, s9, v13, s2
	global_load_b32 v24, v[27:28], off
.LBB14_15:                              ;   in Loop: Header=BB14_9 Depth=1
	s_wait_alu 0xfffe
	s_or_b32 exec_lo, exec_lo, s3
	v_add_co_u32 v27, s2, v1, s16
	s_wait_alu 0xf1ff
	v_add_co_ci_u32_e64 v28, null, s17, v11, s2
	s_delay_alu instid0(VALU_DEP_1)
	v_cmp_gt_u64_e64 s2, s[14:15], v[27:28]
	v_mov_b32_e32 v27, 0
	s_and_saveexec_b32 s18, s2
	s_cbranch_execz .LBB14_17
; %bb.16:                               ;   in Loop: Header=BB14_9 Depth=1
	v_add_co_u32 v27, s3, v7, s8
	s_wait_alu 0xf1ff
	v_add_co_ci_u32_e64 v28, null, s9, v8, s3
	global_load_b32 v27, v[27:28], off
.LBB14_17:                              ;   in Loop: Header=BB14_9 Depth=1
	s_wait_alu 0xfffe
	s_or_b32 exec_lo, exec_lo, s18
	global_load_b32 v28, v2, s[4:5]
	s_wait_loadcnt 0x0
	v_mul_lo_u32 v28, v28, s6
	s_and_saveexec_b32 s3, vcc_lo
	s_cbranch_execnz .LBB14_21
; %bb.18:                               ;   in Loop: Header=BB14_9 Depth=1
	s_wait_alu 0xfffe
	s_or_b32 exec_lo, exec_lo, s3
	s_and_saveexec_b32 s3, s0
	s_cbranch_execnz .LBB14_22
.LBB14_19:                              ;   in Loop: Header=BB14_9 Depth=1
	s_wait_alu 0xfffe
	s_or_b32 exec_lo, exec_lo, s3
	s_and_saveexec_b32 s0, s1
	s_cbranch_execnz .LBB14_23
.LBB14_20:                              ;   in Loop: Header=BB14_9 Depth=1
	s_wait_alu 0xfffe
	s_or_b32 exec_lo, exec_lo, s0
	s_and_saveexec_b32 s0, s2
	s_cbranch_execz .LBB14_8
	s_branch .LBB14_24
.LBB14_21:                              ;   in Loop: Header=BB14_9 Depth=1
	v_add_co_u32 v29, vcc_lo, v5, s8
	s_wait_alu 0xfffd
	v_add_co_ci_u32_e64 v30, null, s9, v6, vcc_lo
	s_delay_alu instid0(VALU_DEP_3)
	v_add_nc_u32_e32 v25, v28, v25
	global_store_b32 v[29:30], v25, off
	s_wait_alu 0xfffe
	s_or_b32 exec_lo, exec_lo, s3
	s_and_saveexec_b32 s3, s0
	s_cbranch_execz .LBB14_19
.LBB14_22:                              ;   in Loop: Header=BB14_9 Depth=1
	v_add_co_u32 v25, vcc_lo, v22, s8
	v_add_nc_u32_e32 v29, v28, v26
	s_wait_alu 0xfffd
	v_add_co_ci_u32_e64 v26, null, s9, v23, vcc_lo
	global_store_b32 v[25:26], v29, off
	s_wait_alu 0xfffe
	s_or_b32 exec_lo, exec_lo, s3
	s_and_saveexec_b32 s0, s1
	s_cbranch_execz .LBB14_20
.LBB14_23:                              ;   in Loop: Header=BB14_9 Depth=1
	v_add_nc_u32_e32 v26, v28, v24
	v_add_co_u32 v24, vcc_lo, v15, s8
	s_wait_alu 0xfffd
	v_add_co_ci_u32_e64 v25, null, s9, v16, vcc_lo
	global_store_b32 v[24:25], v26, off
	s_wait_alu 0xfffe
	s_or_b32 exec_lo, exec_lo, s0
	s_and_saveexec_b32 s0, s2
	s_cbranch_execz .LBB14_8
.LBB14_24:                              ;   in Loop: Header=BB14_9 Depth=1
	v_add_co_u32 v24, vcc_lo, v9, s8
	v_add_nc_u32_e32 v26, v28, v27
	s_wait_alu 0xfffd
	v_add_co_ci_u32_e64 v25, null, s9, v10, vcc_lo
	global_store_b32 v[24:25], v26, off
	s_branch .LBB14_8
.LBB14_25:
	s_endpgm
	.section	.rodata,"a",@progbits
	.p2align	6, 0x0
	.amdhsa_kernel _ZN2at6native12_GLOBAL__N_125multi_tensor_apply_kernelINS1_18TensorListMetadataILi2EEENS1_27BinaryOpScalarTensorFunctorIiLi2ELi1ELi1EEEJSt4plusIiEPiiEEEvT_T0_DpT1_
		.amdhsa_group_segment_fixed_size 0
		.amdhsa_private_segment_fixed_size 0
		.amdhsa_kernarg_size 3424
		.amdhsa_user_sgpr_count 2
		.amdhsa_user_sgpr_dispatch_ptr 0
		.amdhsa_user_sgpr_queue_ptr 0
		.amdhsa_user_sgpr_kernarg_segment_ptr 1
		.amdhsa_user_sgpr_dispatch_id 0
		.amdhsa_user_sgpr_private_segment_size 0
		.amdhsa_wavefront_size32 1
		.amdhsa_uses_dynamic_stack 0
		.amdhsa_enable_private_segment 0
		.amdhsa_system_sgpr_workgroup_id_x 1
		.amdhsa_system_sgpr_workgroup_id_y 0
		.amdhsa_system_sgpr_workgroup_id_z 0
		.amdhsa_system_sgpr_workgroup_info 0
		.amdhsa_system_vgpr_workitem_id 0
		.amdhsa_next_free_vgpr 31
		.amdhsa_next_free_sgpr 24
		.amdhsa_reserve_vcc 1
		.amdhsa_float_round_mode_32 0
		.amdhsa_float_round_mode_16_64 0
		.amdhsa_float_denorm_mode_32 3
		.amdhsa_float_denorm_mode_16_64 3
		.amdhsa_fp16_overflow 0
		.amdhsa_workgroup_processor_mode 1
		.amdhsa_memory_ordered 1
		.amdhsa_forward_progress 1
		.amdhsa_inst_pref_size 14
		.amdhsa_round_robin_scheduling 0
		.amdhsa_exception_fp_ieee_invalid_op 0
		.amdhsa_exception_fp_denorm_src 0
		.amdhsa_exception_fp_ieee_div_zero 0
		.amdhsa_exception_fp_ieee_overflow 0
		.amdhsa_exception_fp_ieee_underflow 0
		.amdhsa_exception_fp_ieee_inexact 0
		.amdhsa_exception_int_div_zero 0
	.end_amdhsa_kernel
	.section	.text._ZN2at6native12_GLOBAL__N_125multi_tensor_apply_kernelINS1_18TensorListMetadataILi2EEENS1_27BinaryOpScalarTensorFunctorIiLi2ELi1ELi1EEEJSt4plusIiEPiiEEEvT_T0_DpT1_,"axG",@progbits,_ZN2at6native12_GLOBAL__N_125multi_tensor_apply_kernelINS1_18TensorListMetadataILi2EEENS1_27BinaryOpScalarTensorFunctorIiLi2ELi1ELi1EEEJSt4plusIiEPiiEEEvT_T0_DpT1_,comdat
.Lfunc_end14:
	.size	_ZN2at6native12_GLOBAL__N_125multi_tensor_apply_kernelINS1_18TensorListMetadataILi2EEENS1_27BinaryOpScalarTensorFunctorIiLi2ELi1ELi1EEEJSt4plusIiEPiiEEEvT_T0_DpT1_, .Lfunc_end14-_ZN2at6native12_GLOBAL__N_125multi_tensor_apply_kernelINS1_18TensorListMetadataILi2EEENS1_27BinaryOpScalarTensorFunctorIiLi2ELi1ELi1EEEJSt4plusIiEPiiEEEvT_T0_DpT1_
                                        ; -- End function
	.set _ZN2at6native12_GLOBAL__N_125multi_tensor_apply_kernelINS1_18TensorListMetadataILi2EEENS1_27BinaryOpScalarTensorFunctorIiLi2ELi1ELi1EEEJSt4plusIiEPiiEEEvT_T0_DpT1_.num_vgpr, 31
	.set _ZN2at6native12_GLOBAL__N_125multi_tensor_apply_kernelINS1_18TensorListMetadataILi2EEENS1_27BinaryOpScalarTensorFunctorIiLi2ELi1ELi1EEEJSt4plusIiEPiiEEEvT_T0_DpT1_.num_agpr, 0
	.set _ZN2at6native12_GLOBAL__N_125multi_tensor_apply_kernelINS1_18TensorListMetadataILi2EEENS1_27BinaryOpScalarTensorFunctorIiLi2ELi1ELi1EEEJSt4plusIiEPiiEEEvT_T0_DpT1_.numbered_sgpr, 24
	.set _ZN2at6native12_GLOBAL__N_125multi_tensor_apply_kernelINS1_18TensorListMetadataILi2EEENS1_27BinaryOpScalarTensorFunctorIiLi2ELi1ELi1EEEJSt4plusIiEPiiEEEvT_T0_DpT1_.num_named_barrier, 0
	.set _ZN2at6native12_GLOBAL__N_125multi_tensor_apply_kernelINS1_18TensorListMetadataILi2EEENS1_27BinaryOpScalarTensorFunctorIiLi2ELi1ELi1EEEJSt4plusIiEPiiEEEvT_T0_DpT1_.private_seg_size, 0
	.set _ZN2at6native12_GLOBAL__N_125multi_tensor_apply_kernelINS1_18TensorListMetadataILi2EEENS1_27BinaryOpScalarTensorFunctorIiLi2ELi1ELi1EEEJSt4plusIiEPiiEEEvT_T0_DpT1_.uses_vcc, 1
	.set _ZN2at6native12_GLOBAL__N_125multi_tensor_apply_kernelINS1_18TensorListMetadataILi2EEENS1_27BinaryOpScalarTensorFunctorIiLi2ELi1ELi1EEEJSt4plusIiEPiiEEEvT_T0_DpT1_.uses_flat_scratch, 0
	.set _ZN2at6native12_GLOBAL__N_125multi_tensor_apply_kernelINS1_18TensorListMetadataILi2EEENS1_27BinaryOpScalarTensorFunctorIiLi2ELi1ELi1EEEJSt4plusIiEPiiEEEvT_T0_DpT1_.has_dyn_sized_stack, 0
	.set _ZN2at6native12_GLOBAL__N_125multi_tensor_apply_kernelINS1_18TensorListMetadataILi2EEENS1_27BinaryOpScalarTensorFunctorIiLi2ELi1ELi1EEEJSt4plusIiEPiiEEEvT_T0_DpT1_.has_recursion, 0
	.set _ZN2at6native12_GLOBAL__N_125multi_tensor_apply_kernelINS1_18TensorListMetadataILi2EEENS1_27BinaryOpScalarTensorFunctorIiLi2ELi1ELi1EEEJSt4plusIiEPiiEEEvT_T0_DpT1_.has_indirect_call, 0
	.section	.AMDGPU.csdata,"",@progbits
; Kernel info:
; codeLenInByte = 1692
; TotalNumSgprs: 26
; NumVgprs: 31
; ScratchSize: 0
; MemoryBound: 0
; FloatMode: 240
; IeeeMode: 1
; LDSByteSize: 0 bytes/workgroup (compile time only)
; SGPRBlocks: 0
; VGPRBlocks: 3
; NumSGPRsForWavesPerEU: 26
; NumVGPRsForWavesPerEU: 31
; Occupancy: 16
; WaveLimiterHint : 0
; COMPUTE_PGM_RSRC2:SCRATCH_EN: 0
; COMPUTE_PGM_RSRC2:USER_SGPR: 2
; COMPUTE_PGM_RSRC2:TRAP_HANDLER: 0
; COMPUTE_PGM_RSRC2:TGID_X_EN: 1
; COMPUTE_PGM_RSRC2:TGID_Y_EN: 0
; COMPUTE_PGM_RSRC2:TGID_Z_EN: 0
; COMPUTE_PGM_RSRC2:TIDIG_COMP_CNT: 0
	.section	.text._ZN2at6native12_GLOBAL__N_125multi_tensor_apply_kernelINS1_18TensorListMetadataILi2EEENS1_27BinaryOpScalarTensorFunctorIlLi2ELi1ELi1EEEJSt4plusIlEPllEEEvT_T0_DpT1_,"axG",@progbits,_ZN2at6native12_GLOBAL__N_125multi_tensor_apply_kernelINS1_18TensorListMetadataILi2EEENS1_27BinaryOpScalarTensorFunctorIlLi2ELi1ELi1EEEJSt4plusIlEPllEEEvT_T0_DpT1_,comdat
	.globl	_ZN2at6native12_GLOBAL__N_125multi_tensor_apply_kernelINS1_18TensorListMetadataILi2EEENS1_27BinaryOpScalarTensorFunctorIlLi2ELi1ELi1EEEJSt4plusIlEPllEEEvT_T0_DpT1_ ; -- Begin function _ZN2at6native12_GLOBAL__N_125multi_tensor_apply_kernelINS1_18TensorListMetadataILi2EEENS1_27BinaryOpScalarTensorFunctorIlLi2ELi1ELi1EEEJSt4plusIlEPllEEEvT_T0_DpT1_
	.p2align	8
	.type	_ZN2at6native12_GLOBAL__N_125multi_tensor_apply_kernelINS1_18TensorListMetadataILi2EEENS1_27BinaryOpScalarTensorFunctorIlLi2ELi1ELi1EEEJSt4plusIlEPllEEEvT_T0_DpT1_,@function
_ZN2at6native12_GLOBAL__N_125multi_tensor_apply_kernelINS1_18TensorListMetadataILi2EEENS1_27BinaryOpScalarTensorFunctorIlLi2ELi1ELi1EEEJSt4plusIlEPllEEEvT_T0_DpT1_: ; @_ZN2at6native12_GLOBAL__N_125multi_tensor_apply_kernelINS1_18TensorListMetadataILi2EEENS1_27BinaryOpScalarTensorFunctorIlLi2ELi1ELi1EEEJSt4plusIlEPllEEEvT_T0_DpT1_
; %bb.0:
	s_mov_b32 s2, ttmp9
	s_mov_b32 s3, 0
	s_delay_alu instid0(SALU_CYCLE_1)
	s_mul_u64 s[4:5], s[2:3], 3
	s_add_nc_u64 s[6:7], s[0:1], s[2:3]
	s_mov_b32 s15, s3
	s_add_nc_u64 s[4:5], s[6:7], s[4:5]
	s_clause 0x1
	s_load_b32 s4, s[4:5], 0x740
	s_load_u8 s2, s[0:1], ttmp9 offset:0x600
	s_mov_b32 s21, s3
	s_wait_kmcnt 0x0
	s_ashr_i32 s5, s4, 31
	s_lshl_b32 s2, s2, 3
	s_clause 0x3
	s_load_b64 s[16:17], s[0:1], s2 offset:0x0
	s_load_b64 s[18:19], s[0:1], s2 offset:0x200
	;; [unrolled: 1-line block ×3, first 2 shown]
	s_load_b128 s[8:11], s[0:1], 0xc50
	s_lshl_b64 s[12:13], s[4:5], 19
	s_lshl_b64 s[4:5], s[4:5], 16
	s_wait_kmcnt 0x0
	s_add_nc_u64 s[22:23], s[16:17], s[12:13]
	s_and_b32 s14, s18, 31
	s_and_b32 s20, s6, 3
	;; [unrolled: 1-line block ×3, first 2 shown]
	s_or_b64 s[14:15], s[14:15], s[20:21]
	s_delay_alu instid0(SALU_CYCLE_1)
	s_or_b64 s[2:3], s[14:15], s[2:3]
	s_sub_nc_u64 s[14:15], s[6:7], s[4:5]
	s_cmp_eq_u64 s[2:3], 0
	s_mov_b32 s2, -1
	s_cbranch_scc0 .LBB15_5
; %bb.1:
	v_cmp_gt_i64_e64 s2, 0x10000, s[14:15]
	v_dual_mov_b32 v2, 0 :: v_dual_lshlrev_b32 v1, 2, v0
	s_mov_b32 s7, exec_lo
	s_and_b32 s2, s2, exec_lo
	s_cselect_b32 s21, s15, 0
	s_cselect_b32 s20, s14, 0x10000
	s_delay_alu instid0(SALU_CYCLE_1)
	v_cmpx_gt_i64_e64 s[20:21], v[1:2]
	s_cbranch_execz .LBB15_4
; %bb.2:
	s_load_b32 s2, s[0:1], 0xc6c
	v_lshlrev_b32_e32 v3, 5, v0
	v_mov_b32_e32 v1, v2
	s_mov_b32 s23, 0
	s_delay_alu instid0(VALU_DEP_2) | instskip(NEXT) | instid1(VALU_DEP_1)
	v_add_co_u32 v5, s3, s12, v3
	v_add_co_ci_u32_e64 v6, null, s13, 0, s3
	s_delay_alu instid0(VALU_DEP_3) | instskip(SKIP_2) | instid1(SALU_CYCLE_1)
	v_dual_mov_b32 v4, v1 :: v_dual_mov_b32 v3, v0
	s_wait_kmcnt 0x0
	s_and_b32 s22, s2, 0xffff
	s_lshl_b32 s24, s22, 5
.LBB15_3:                               ; =>This Inner Loop Header: Depth=1
	global_load_b64 v[15:16], v2, s[8:9]
	v_add_co_u32 v11, vcc_lo, s16, v5
	s_wait_alu 0xfffd
	v_add_co_ci_u32_e64 v12, null, s17, v6, vcc_lo
	v_add_co_u32 v3, vcc_lo, v3, s22
	s_clause 0x1
	global_load_b128 v[7:10], v[11:12], off
	global_load_b128 v[11:14], v[11:12], off offset:16
	s_wait_alu 0xfffd
	v_add_co_ci_u32_e64 v4, null, 0, v4, vcc_lo
	v_add_co_u32 v17, vcc_lo, s18, v5
	s_wait_alu 0xfffd
	v_add_co_ci_u32_e64 v18, null, s19, v6, vcc_lo
	s_delay_alu instid0(VALU_DEP_3) | instskip(SKIP_3) | instid1(VALU_DEP_3)
	v_lshlrev_b64_e32 v[19:20], 2, v[3:4]
	v_add_co_u32 v5, vcc_lo, v5, s24
	s_wait_alu 0xfffd
	v_add_co_ci_u32_e64 v6, null, 0, v6, vcc_lo
	v_cmp_le_i64_e64 s2, s[20:21], v[19:20]
	s_or_b32 s23, s2, s23
	s_wait_loadcnt 0x2
	v_mul_lo_u32 v1, s10, v16
	v_mul_lo_u32 v16, s11, v15
	v_mul_hi_u32 v19, s10, v15
	v_mul_lo_u32 v15, s10, v15
	s_delay_alu instid0(VALU_DEP_3) | instskip(SKIP_1) | instid1(VALU_DEP_2)
	v_add_nc_u32_e32 v1, v1, v16
	s_wait_loadcnt 0x1
	v_add_co_u32 v9, s3, v15, v9
	v_add_co_u32 v7, s6, v15, v7
	s_delay_alu instid0(VALU_DEP_3)
	v_add_nc_u32_e32 v1, v1, v19
	s_wait_loadcnt 0x0
	v_add_co_u32 v11, s4, v15, v11
	v_add_co_u32 v13, s5, v15, v13
	s_wait_alu 0xf1ff
	v_add_co_ci_u32_e64 v8, null, v1, v8, s6
	v_add_co_ci_u32_e64 v10, null, v1, v10, s3
	;; [unrolled: 1-line block ×4, first 2 shown]
	s_clause 0x1
	global_store_b128 v[17:18], v[7:10], off
	global_store_b128 v[17:18], v[11:14], off offset:16
	s_wait_alu 0xfffe
	s_and_not1_b32 exec_lo, exec_lo, s23
	s_cbranch_execnz .LBB15_3
.LBB15_4:
	s_or_b32 exec_lo, exec_lo, s7
	s_mov_b32 s2, 0
.LBB15_5:
	s_wait_alu 0xfffe
	s_and_not1_b32 vcc_lo, exec_lo, s2
	s_wait_alu 0xfffe
	s_cbranch_vccnz .LBB15_25
; %bb.6:
	v_cmp_lt_i64_e64 s2, s[14:15], 1
	s_and_b32 vcc_lo, exec_lo, s2
	s_wait_alu 0xfffe
	s_cbranch_vccnz .LBB15_25
; %bb.7:
	s_load_b32 s0, s[0:1], 0xc6c
	v_cmp_gt_i64_e64 s1, 0x10000, s[14:15]
	v_dual_mov_b32 v2, 0 :: v_dual_lshlrev_b32 v1, 3, v0
	v_cmp_gt_u64_e64 s2, 0x10000, s[14:15]
	s_mov_b32 s5, 0
	s_and_b32 s1, s1, exec_lo
	s_cselect_b32 s7, s15, 0
	s_cselect_b32 s6, s14, 0x10000
	v_add_co_u32 v13, s1, s18, v1
	v_add_co_u32 v11, s3, s16, v1
	v_add_co_ci_u32_e64 v14, null, s19, 0, s1
	s_wait_alu 0xf1ff
	v_add_co_ci_u32_e64 v12, null, s17, 0, s3
	s_wait_kmcnt 0x0
	s_and_b32 s0, s0, 0xffff
	s_and_b32 s1, s2, exec_lo
	s_wait_alu 0xfffe
	v_mad_co_u64_u32 v[3:4], null, s0, 24, v[1:2]
	s_cselect_b32 s15, s15, 0
	s_cselect_b32 s14, s14, 0x10000
	s_mul_i32 s2, s0, 3
	s_lshl_b32 s3, s0, 4
	s_lshl_b32 s1, s0, 1
	s_lshl_b32 s4, s0, 2
	v_add_co_u32 v15, vcc_lo, s16, v3
	s_wait_alu 0xfffd
	v_add_co_ci_u32_e64 v16, null, s17, v4, vcc_lo
	v_add_co_u32 v17, vcc_lo, s18, v3
	s_wait_alu 0xfffe
	v_add_co_u32 v3, s3, s3, v1
	v_add_co_u32 v1, s2, s2, v0
	s_wait_alu 0xfffd
	v_add_co_ci_u32_e64 v18, null, s19, v4, vcc_lo
	s_wait_alu 0xf1ff
	v_add_co_ci_u32_e64 v4, null, 0, 0, s3
	v_add_co_ci_u32_e64 v19, null, 0, 0, s2
	v_add_co_u32 v22, s2, v0, s0
	v_add_co_u32 v20, vcc_lo, s16, v3
	s_wait_alu 0xfffd
	v_add_co_ci_u32_e64 v21, null, s17, v4, vcc_lo
	v_add_co_u32 v23, vcc_lo, s18, v3
	v_lshlrev_b32_e32 v3, 3, v22
	v_add_co_u32 v26, s1, s1, v0
	s_wait_alu 0xf1ff
	v_add_co_ci_u32_e64 v27, null, 0, 0, s1
	s_delay_alu instid0(VALU_DEP_3)
	v_add_co_u32 v28, s1, s16, v3
	s_wait_alu 0xf1ff
	v_add_co_ci_u32_e64 v29, null, s17, 0, s1
	v_add_co_u32 v30, s1, s18, v3
	s_wait_alu 0xfffd
	v_add_co_ci_u32_e64 v24, null, s19, v4, vcc_lo
	v_add_co_ci_u32_e64 v25, null, 0, 0, s2
	s_wait_alu 0xf1ff
	v_add_co_ci_u32_e64 v31, null, s19, 0, s1
	s_lshl_b32 s18, s0, 5
	s_mov_b64 s[16:17], 0
	s_branch .LBB15_9
.LBB15_8:                               ;   in Loop: Header=BB15_9 Depth=1
	s_wait_alu 0xfffe
	s_or_b32 exec_lo, exec_lo, s0
	v_add_co_u32 v11, vcc_lo, v11, s18
	s_wait_alu 0xfffd
	v_add_co_ci_u32_e64 v12, null, 0, v12, vcc_lo
	v_add_co_u32 v13, vcc_lo, v13, s18
	s_wait_alu 0xfffd
	v_add_co_ci_u32_e64 v14, null, 0, v14, vcc_lo
	;; [unrolled: 3-line block ×5, first 2 shown]
	v_add_co_u32 v23, vcc_lo, v23, s18
	s_add_nc_u64 s[16:17], s[16:17], s[4:5]
	s_wait_alu 0xfffd
	v_add_co_ci_u32_e64 v24, null, 0, v24, vcc_lo
	v_add_co_u32 v28, vcc_lo, v28, s18
	s_wait_alu 0xfffe
	v_cmp_ge_i64_e64 s0, s[16:17], s[6:7]
	s_wait_alu 0xfffd
	v_add_co_ci_u32_e64 v29, null, 0, v29, vcc_lo
	v_add_co_u32 v30, vcc_lo, v30, s18
	s_wait_alu 0xfffd
	v_add_co_ci_u32_e64 v31, null, 0, v31, vcc_lo
	s_and_b32 vcc_lo, exec_lo, s0
	s_wait_alu 0xfffe
	s_cbranch_vccnz .LBB15_25
.LBB15_9:                               ; =>This Inner Loop Header: Depth=1
	s_wait_alu 0xfffe
	v_add_co_u32 v5, s0, v0, s16
	s_wait_alu 0xf1ff
	v_add_co_ci_u32_e64 v6, null, 0, s17, s0
	v_mov_b32_e32 v3, 0
	v_dual_mov_b32 v4, 0 :: v_dual_mov_b32 v7, 0
	s_delay_alu instid0(VALU_DEP_3)
	v_cmp_gt_u64_e32 vcc_lo, s[14:15], v[5:6]
	v_mov_b32_e32 v8, 0
	s_and_saveexec_b32 s1, vcc_lo
	s_cbranch_execz .LBB15_11
; %bb.10:                               ;   in Loop: Header=BB15_9 Depth=1
	v_add_co_u32 v5, s0, v11, s12
	s_wait_alu 0xf1ff
	v_add_co_ci_u32_e64 v6, null, s13, v12, s0
	global_load_b64 v[7:8], v[5:6], off
.LBB15_11:                              ;   in Loop: Header=BB15_9 Depth=1
	s_wait_alu 0xfffe
	s_or_b32 exec_lo, exec_lo, s1
	v_add_co_u32 v5, s0, v22, s16
	s_wait_alu 0xf1ff
	v_add_co_ci_u32_e64 v6, null, s17, v25, s0
	s_delay_alu instid0(VALU_DEP_1)
	v_cmp_gt_u64_e64 s0, s[14:15], v[5:6]
	s_and_saveexec_b32 s2, s0
	s_cbranch_execz .LBB15_13
; %bb.12:                               ;   in Loop: Header=BB15_9 Depth=1
	v_add_co_u32 v3, s1, v28, s12
	s_wait_alu 0xf1ff
	v_add_co_ci_u32_e64 v4, null, s13, v29, s1
	global_load_b64 v[3:4], v[3:4], off
.LBB15_13:                              ;   in Loop: Header=BB15_9 Depth=1
	s_wait_alu 0xfffe
	s_or_b32 exec_lo, exec_lo, s2
	v_add_co_u32 v9, s1, v26, s16
	s_wait_alu 0xf1ff
	v_add_co_ci_u32_e64 v10, null, s17, v27, s1
	v_mov_b32_e32 v5, 0
	v_mov_b32_e32 v6, 0
	s_delay_alu instid0(VALU_DEP_3)
	v_cmp_gt_u64_e64 s1, s[14:15], v[9:10]
	v_mov_b32_e32 v9, 0
	v_mov_b32_e32 v10, 0
	s_and_saveexec_b32 s3, s1
	s_cbranch_execz .LBB15_15
; %bb.14:                               ;   in Loop: Header=BB15_9 Depth=1
	v_add_co_u32 v9, s2, v20, s12
	s_wait_alu 0xf1ff
	v_add_co_ci_u32_e64 v10, null, s13, v21, s2
	global_load_b64 v[9:10], v[9:10], off
.LBB15_15:                              ;   in Loop: Header=BB15_9 Depth=1
	s_wait_alu 0xfffe
	s_or_b32 exec_lo, exec_lo, s3
	v_add_co_u32 v32, s2, v1, s16
	s_wait_alu 0xf1ff
	v_add_co_ci_u32_e64 v33, null, s17, v19, s2
	s_delay_alu instid0(VALU_DEP_1)
	v_cmp_gt_u64_e64 s2, s[14:15], v[32:33]
	s_and_saveexec_b32 s19, s2
	s_cbranch_execz .LBB15_17
; %bb.16:                               ;   in Loop: Header=BB15_9 Depth=1
	v_add_co_u32 v5, s3, v15, s12
	s_wait_alu 0xf1ff
	v_add_co_ci_u32_e64 v6, null, s13, v16, s3
	global_load_b64 v[5:6], v[5:6], off
.LBB15_17:                              ;   in Loop: Header=BB15_9 Depth=1
	s_wait_alu 0xfffe
	s_or_b32 exec_lo, exec_lo, s19
	global_load_b64 v[32:33], v2, s[8:9]
	s_wait_loadcnt 0x0
	v_mul_lo_u32 v33, s10, v33
	v_mul_lo_u32 v34, s11, v32
	v_mul_hi_u32 v35, s10, v32
	v_mul_lo_u32 v32, s10, v32
	s_delay_alu instid0(VALU_DEP_3) | instskip(NEXT) | instid1(VALU_DEP_1)
	v_add_nc_u32_e32 v33, v33, v34
	v_add_nc_u32_e32 v33, v33, v35
	s_and_saveexec_b32 s3, vcc_lo
	s_cbranch_execnz .LBB15_21
; %bb.18:                               ;   in Loop: Header=BB15_9 Depth=1
	s_wait_alu 0xfffe
	s_or_b32 exec_lo, exec_lo, s3
	s_and_saveexec_b32 s3, s0
	s_cbranch_execnz .LBB15_22
.LBB15_19:                              ;   in Loop: Header=BB15_9 Depth=1
	s_wait_alu 0xfffe
	s_or_b32 exec_lo, exec_lo, s3
	s_and_saveexec_b32 s0, s1
	s_cbranch_execnz .LBB15_23
.LBB15_20:                              ;   in Loop: Header=BB15_9 Depth=1
	s_wait_alu 0xfffe
	s_or_b32 exec_lo, exec_lo, s0
	s_and_saveexec_b32 s0, s2
	s_cbranch_execz .LBB15_8
	s_branch .LBB15_24
.LBB15_21:                              ;   in Loop: Header=BB15_9 Depth=1
	v_add_co_u32 v34, vcc_lo, v13, s12
	s_wait_alu 0xfffd
	v_add_co_ci_u32_e64 v35, null, s13, v14, vcc_lo
	v_add_co_u32 v7, vcc_lo, v32, v7
	s_wait_alu 0xfffd
	v_add_co_ci_u32_e64 v8, null, v33, v8, vcc_lo
	global_store_b64 v[34:35], v[7:8], off
	s_wait_alu 0xfffe
	s_or_b32 exec_lo, exec_lo, s3
	s_and_saveexec_b32 s3, s0
	s_cbranch_execz .LBB15_19
.LBB15_22:                              ;   in Loop: Header=BB15_9 Depth=1
	v_add_co_u32 v3, vcc_lo, v32, v3
	s_wait_alu 0xfffd
	v_add_co_ci_u32_e64 v4, null, v33, v4, vcc_lo
	v_add_co_u32 v7, vcc_lo, v30, s12
	s_wait_alu 0xfffd
	v_add_co_ci_u32_e64 v8, null, s13, v31, vcc_lo
	global_store_b64 v[7:8], v[3:4], off
	s_wait_alu 0xfffe
	s_or_b32 exec_lo, exec_lo, s3
	s_and_saveexec_b32 s0, s1
	s_cbranch_execz .LBB15_20
.LBB15_23:                              ;   in Loop: Header=BB15_9 Depth=1
	v_add_co_u32 v3, vcc_lo, v32, v9
	s_wait_alu 0xfffd
	v_add_co_ci_u32_e64 v4, null, v33, v10, vcc_lo
	v_add_co_u32 v7, vcc_lo, v23, s12
	s_wait_alu 0xfffd
	v_add_co_ci_u32_e64 v8, null, s13, v24, vcc_lo
	global_store_b64 v[7:8], v[3:4], off
	s_wait_alu 0xfffe
	s_or_b32 exec_lo, exec_lo, s0
	s_and_saveexec_b32 s0, s2
	s_cbranch_execz .LBB15_8
.LBB15_24:                              ;   in Loop: Header=BB15_9 Depth=1
	v_add_co_u32 v3, vcc_lo, v32, v5
	s_wait_alu 0xfffd
	v_add_co_ci_u32_e64 v4, null, v33, v6, vcc_lo
	v_add_co_u32 v5, vcc_lo, v17, s12
	s_wait_alu 0xfffd
	v_add_co_ci_u32_e64 v6, null, s13, v18, vcc_lo
	global_store_b64 v[5:6], v[3:4], off
	s_branch .LBB15_8
.LBB15_25:
	s_endpgm
	.section	.rodata,"a",@progbits
	.p2align	6, 0x0
	.amdhsa_kernel _ZN2at6native12_GLOBAL__N_125multi_tensor_apply_kernelINS1_18TensorListMetadataILi2EEENS1_27BinaryOpScalarTensorFunctorIlLi2ELi1ELi1EEEJSt4plusIlEPllEEEvT_T0_DpT1_
		.amdhsa_group_segment_fixed_size 0
		.amdhsa_private_segment_fixed_size 0
		.amdhsa_kernarg_size 3424
		.amdhsa_user_sgpr_count 2
		.amdhsa_user_sgpr_dispatch_ptr 0
		.amdhsa_user_sgpr_queue_ptr 0
		.amdhsa_user_sgpr_kernarg_segment_ptr 1
		.amdhsa_user_sgpr_dispatch_id 0
		.amdhsa_user_sgpr_private_segment_size 0
		.amdhsa_wavefront_size32 1
		.amdhsa_uses_dynamic_stack 0
		.amdhsa_enable_private_segment 0
		.amdhsa_system_sgpr_workgroup_id_x 1
		.amdhsa_system_sgpr_workgroup_id_y 0
		.amdhsa_system_sgpr_workgroup_id_z 0
		.amdhsa_system_sgpr_workgroup_info 0
		.amdhsa_system_vgpr_workitem_id 0
		.amdhsa_next_free_vgpr 36
		.amdhsa_next_free_sgpr 25
		.amdhsa_reserve_vcc 1
		.amdhsa_float_round_mode_32 0
		.amdhsa_float_round_mode_16_64 0
		.amdhsa_float_denorm_mode_32 3
		.amdhsa_float_denorm_mode_16_64 3
		.amdhsa_fp16_overflow 0
		.amdhsa_workgroup_processor_mode 1
		.amdhsa_memory_ordered 1
		.amdhsa_forward_progress 1
		.amdhsa_inst_pref_size 16
		.amdhsa_round_robin_scheduling 0
		.amdhsa_exception_fp_ieee_invalid_op 0
		.amdhsa_exception_fp_denorm_src 0
		.amdhsa_exception_fp_ieee_div_zero 0
		.amdhsa_exception_fp_ieee_overflow 0
		.amdhsa_exception_fp_ieee_underflow 0
		.amdhsa_exception_fp_ieee_inexact 0
		.amdhsa_exception_int_div_zero 0
	.end_amdhsa_kernel
	.section	.text._ZN2at6native12_GLOBAL__N_125multi_tensor_apply_kernelINS1_18TensorListMetadataILi2EEENS1_27BinaryOpScalarTensorFunctorIlLi2ELi1ELi1EEEJSt4plusIlEPllEEEvT_T0_DpT1_,"axG",@progbits,_ZN2at6native12_GLOBAL__N_125multi_tensor_apply_kernelINS1_18TensorListMetadataILi2EEENS1_27BinaryOpScalarTensorFunctorIlLi2ELi1ELi1EEEJSt4plusIlEPllEEEvT_T0_DpT1_,comdat
.Lfunc_end15:
	.size	_ZN2at6native12_GLOBAL__N_125multi_tensor_apply_kernelINS1_18TensorListMetadataILi2EEENS1_27BinaryOpScalarTensorFunctorIlLi2ELi1ELi1EEEJSt4plusIlEPllEEEvT_T0_DpT1_, .Lfunc_end15-_ZN2at6native12_GLOBAL__N_125multi_tensor_apply_kernelINS1_18TensorListMetadataILi2EEENS1_27BinaryOpScalarTensorFunctorIlLi2ELi1ELi1EEEJSt4plusIlEPllEEEvT_T0_DpT1_
                                        ; -- End function
	.set _ZN2at6native12_GLOBAL__N_125multi_tensor_apply_kernelINS1_18TensorListMetadataILi2EEENS1_27BinaryOpScalarTensorFunctorIlLi2ELi1ELi1EEEJSt4plusIlEPllEEEvT_T0_DpT1_.num_vgpr, 36
	.set _ZN2at6native12_GLOBAL__N_125multi_tensor_apply_kernelINS1_18TensorListMetadataILi2EEENS1_27BinaryOpScalarTensorFunctorIlLi2ELi1ELi1EEEJSt4plusIlEPllEEEvT_T0_DpT1_.num_agpr, 0
	.set _ZN2at6native12_GLOBAL__N_125multi_tensor_apply_kernelINS1_18TensorListMetadataILi2EEENS1_27BinaryOpScalarTensorFunctorIlLi2ELi1ELi1EEEJSt4plusIlEPllEEEvT_T0_DpT1_.numbered_sgpr, 25
	.set _ZN2at6native12_GLOBAL__N_125multi_tensor_apply_kernelINS1_18TensorListMetadataILi2EEENS1_27BinaryOpScalarTensorFunctorIlLi2ELi1ELi1EEEJSt4plusIlEPllEEEvT_T0_DpT1_.num_named_barrier, 0
	.set _ZN2at6native12_GLOBAL__N_125multi_tensor_apply_kernelINS1_18TensorListMetadataILi2EEENS1_27BinaryOpScalarTensorFunctorIlLi2ELi1ELi1EEEJSt4plusIlEPllEEEvT_T0_DpT1_.private_seg_size, 0
	.set _ZN2at6native12_GLOBAL__N_125multi_tensor_apply_kernelINS1_18TensorListMetadataILi2EEENS1_27BinaryOpScalarTensorFunctorIlLi2ELi1ELi1EEEJSt4plusIlEPllEEEvT_T0_DpT1_.uses_vcc, 1
	.set _ZN2at6native12_GLOBAL__N_125multi_tensor_apply_kernelINS1_18TensorListMetadataILi2EEENS1_27BinaryOpScalarTensorFunctorIlLi2ELi1ELi1EEEJSt4plusIlEPllEEEvT_T0_DpT1_.uses_flat_scratch, 0
	.set _ZN2at6native12_GLOBAL__N_125multi_tensor_apply_kernelINS1_18TensorListMetadataILi2EEENS1_27BinaryOpScalarTensorFunctorIlLi2ELi1ELi1EEEJSt4plusIlEPllEEEvT_T0_DpT1_.has_dyn_sized_stack, 0
	.set _ZN2at6native12_GLOBAL__N_125multi_tensor_apply_kernelINS1_18TensorListMetadataILi2EEENS1_27BinaryOpScalarTensorFunctorIlLi2ELi1ELi1EEEJSt4plusIlEPllEEEvT_T0_DpT1_.has_recursion, 0
	.set _ZN2at6native12_GLOBAL__N_125multi_tensor_apply_kernelINS1_18TensorListMetadataILi2EEENS1_27BinaryOpScalarTensorFunctorIlLi2ELi1ELi1EEEJSt4plusIlEPllEEEvT_T0_DpT1_.has_indirect_call, 0
	.section	.AMDGPU.csdata,"",@progbits
; Kernel info:
; codeLenInByte = 1932
; TotalNumSgprs: 27
; NumVgprs: 36
; ScratchSize: 0
; MemoryBound: 0
; FloatMode: 240
; IeeeMode: 1
; LDSByteSize: 0 bytes/workgroup (compile time only)
; SGPRBlocks: 0
; VGPRBlocks: 4
; NumSGPRsForWavesPerEU: 27
; NumVGPRsForWavesPerEU: 36
; Occupancy: 16
; WaveLimiterHint : 0
; COMPUTE_PGM_RSRC2:SCRATCH_EN: 0
; COMPUTE_PGM_RSRC2:USER_SGPR: 2
; COMPUTE_PGM_RSRC2:TRAP_HANDLER: 0
; COMPUTE_PGM_RSRC2:TGID_X_EN: 1
; COMPUTE_PGM_RSRC2:TGID_Y_EN: 0
; COMPUTE_PGM_RSRC2:TGID_Z_EN: 0
; COMPUTE_PGM_RSRC2:TIDIG_COMP_CNT: 0
	.section	.text._ZN2at6native12_GLOBAL__N_125multi_tensor_apply_kernelINS1_18TensorListMetadataILi2EEENS1_27BinaryOpScalarTensorFunctorIsLi2ELi1ELi1EEEJSt4plusIsEPssEEEvT_T0_DpT1_,"axG",@progbits,_ZN2at6native12_GLOBAL__N_125multi_tensor_apply_kernelINS1_18TensorListMetadataILi2EEENS1_27BinaryOpScalarTensorFunctorIsLi2ELi1ELi1EEEJSt4plusIsEPssEEEvT_T0_DpT1_,comdat
	.globl	_ZN2at6native12_GLOBAL__N_125multi_tensor_apply_kernelINS1_18TensorListMetadataILi2EEENS1_27BinaryOpScalarTensorFunctorIsLi2ELi1ELi1EEEJSt4plusIsEPssEEEvT_T0_DpT1_ ; -- Begin function _ZN2at6native12_GLOBAL__N_125multi_tensor_apply_kernelINS1_18TensorListMetadataILi2EEENS1_27BinaryOpScalarTensorFunctorIsLi2ELi1ELi1EEEJSt4plusIsEPssEEEvT_T0_DpT1_
	.p2align	8
	.type	_ZN2at6native12_GLOBAL__N_125multi_tensor_apply_kernelINS1_18TensorListMetadataILi2EEENS1_27BinaryOpScalarTensorFunctorIsLi2ELi1ELi1EEEJSt4plusIsEPssEEEvT_T0_DpT1_,@function
_ZN2at6native12_GLOBAL__N_125multi_tensor_apply_kernelINS1_18TensorListMetadataILi2EEENS1_27BinaryOpScalarTensorFunctorIsLi2ELi1ELi1EEEJSt4plusIsEPssEEEvT_T0_DpT1_: ; @_ZN2at6native12_GLOBAL__N_125multi_tensor_apply_kernelINS1_18TensorListMetadataILi2EEENS1_27BinaryOpScalarTensorFunctorIsLi2ELi1ELi1EEEJSt4plusIsEPssEEEvT_T0_DpT1_
; %bb.0:
	s_mov_b32 s2, ttmp9
	s_mov_b32 s3, 0
	s_delay_alu instid0(SALU_CYCLE_1)
	s_mul_u64 s[4:5], s[2:3], 3
	s_add_nc_u64 s[6:7], s[0:1], s[2:3]
	s_mov_b32 s15, s3
	s_add_nc_u64 s[4:5], s[6:7], s[4:5]
	s_clause 0x1
	s_load_b32 s10, s[4:5], 0x740
	s_load_u8 s2, s[0:1], ttmp9 offset:0x600
	s_mov_b32 s21, s3
	s_wait_kmcnt 0x0
	s_ashr_i32 s11, s10, 31
	s_lshl_b32 s2, s2, 3
	s_clause 0x3
	s_load_b64 s[16:17], s[0:1], s2 offset:0x0
	s_load_b64 s[18:19], s[0:1], s2 offset:0x200
	;; [unrolled: 1-line block ×3, first 2 shown]
	s_load_b96 s[4:6], s[0:1], 0xc50
	s_lshl_b64 s[8:9], s[10:11], 17
	s_lshl_b64 s[10:11], s[10:11], 16
	s_wait_kmcnt 0x0
	s_add_nc_u64 s[22:23], s[16:17], s[8:9]
	s_and_b32 s14, s18, 7
	s_and_b32 s20, s12, 3
	;; [unrolled: 1-line block ×3, first 2 shown]
	s_or_b64 s[14:15], s[14:15], s[20:21]
	s_sub_nc_u64 s[12:13], s[12:13], s[10:11]
	s_or_b64 s[2:3], s[14:15], s[2:3]
	s_delay_alu instid0(SALU_CYCLE_1)
	s_cmp_eq_u64 s[2:3], 0
	s_mov_b32 s2, -1
	s_cbranch_scc0 .LBB16_5
; %bb.1:
	v_cmp_gt_i64_e64 s2, 0x10000, s[12:13]
	v_dual_mov_b32 v2, 0 :: v_dual_lshlrev_b32 v1, 2, v0
	s_mov_b32 s3, exec_lo
	s_and_b32 s2, s2, exec_lo
	s_cselect_b32 s11, s13, 0
	s_cselect_b32 s10, s12, 0x10000
	s_delay_alu instid0(SALU_CYCLE_1)
	v_cmpx_gt_i64_e64 s[10:11], v[1:2]
	s_cbranch_execz .LBB16_4
; %bb.2:
	s_load_b32 s2, s[0:1], 0xc6c
	v_lshlrev_b32_e32 v3, 3, v0
	v_mov_b32_e32 v1, v2
	s_mov_b32 s14, 0
	s_delay_alu instid0(VALU_DEP_2) | instskip(NEXT) | instid1(VALU_DEP_1)
	v_add_co_u32 v5, s7, s8, v3
	v_add_co_ci_u32_e64 v6, null, s9, 0, s7
	s_delay_alu instid0(VALU_DEP_3)
	v_dual_mov_b32 v4, v1 :: v_dual_mov_b32 v3, v0
	s_wait_kmcnt 0x0
	s_and_b32 s7, s2, 0xffff
	s_wait_alu 0xfffe
	s_lshl_b32 s15, s7, 3
.LBB16_3:                               ; =>This Inner Loop Header: Depth=1
	global_load_u16 v1, v2, s[4:5]
	v_add_co_u32 v7, vcc_lo, s16, v5
	s_wait_alu 0xfffd
	v_add_co_ci_u32_e64 v8, null, s17, v6, vcc_lo
	v_add_co_u32 v3, vcc_lo, v3, s7
	s_wait_alu 0xfffd
	v_add_co_ci_u32_e64 v4, null, 0, v4, vcc_lo
	global_load_b64 v[7:8], v[7:8], off
	v_add_co_u32 v9, vcc_lo, s18, v5
	v_lshlrev_b64_e32 v[11:12], 2, v[3:4]
	s_wait_alu 0xfffd
	v_add_co_ci_u32_e64 v10, null, s19, v6, vcc_lo
	v_add_co_u32 v5, vcc_lo, v5, s15
	s_wait_alu 0xfffd
	v_add_co_ci_u32_e64 v6, null, 0, v6, vcc_lo
	v_cmp_le_i64_e64 s2, s[10:11], v[11:12]
	s_or_b32 s14, s2, s14
	s_wait_loadcnt 0x1
	v_mul_lo_u32 v1, v1, s6
	s_wait_loadcnt 0x0
	s_delay_alu instid0(VALU_DEP_1)
	v_pk_add_u16 v8, v1, v8 op_sel_hi:[0,1]
	v_pk_add_u16 v7, v1, v7 op_sel_hi:[0,1]
	global_store_b64 v[9:10], v[7:8], off
	s_wait_alu 0xfffe
	s_and_not1_b32 exec_lo, exec_lo, s14
	s_cbranch_execnz .LBB16_3
.LBB16_4:
	s_or_b32 exec_lo, exec_lo, s3
	s_mov_b32 s2, 0
.LBB16_5:
	s_delay_alu instid0(SALU_CYCLE_1)
	s_and_not1_b32 vcc_lo, exec_lo, s2
	s_wait_alu 0xfffe
	s_cbranch_vccnz .LBB16_25
; %bb.6:
	v_cmp_lt_i64_e64 s2, s[12:13], 1
	s_and_b32 vcc_lo, exec_lo, s2
	s_wait_alu 0xfffe
	s_cbranch_vccnz .LBB16_25
; %bb.7:
	s_load_b32 s0, s[0:1], 0xc6c
	v_cmp_gt_i64_e64 s1, 0x10000, s[12:13]
	v_dual_mov_b32 v2, 0 :: v_dual_lshlrev_b32 v1, 1, v0
	v_cmp_gt_u64_e64 s2, 0x10000, s[12:13]
	v_mov_b32_e32 v24, 0
	s_mov_b32 s15, 0
	s_and_b32 s1, s1, exec_lo
	v_add_co_u32 v3, s3, s16, v1
	s_cselect_b32 s11, s13, 0
	s_cselect_b32 s10, s12, 0x10000
	v_add_co_ci_u32_e64 v4, null, s17, 0, s3
	v_add_co_u32 v5, s3, s18, v1
	s_wait_alu 0xf1ff
	v_add_co_ci_u32_e64 v6, null, s19, 0, s3
	v_mov_b32_e32 v25, 0
	s_wait_kmcnt 0x0
	s_and_b32 s0, s0, 0xffff
	s_and_b32 s1, s2, exec_lo
	s_cselect_b32 s13, s13, 0
	s_cselect_b32 s12, s12, 0x10000
	s_mul_i32 s2, s0, 3
	s_lshl_b32 s14, s0, 2
	v_mad_co_u64_u32 v[9:10], null, s0, 6, v[1:2]
	s_wait_alu 0xfffe
	v_add_co_u32 v15, s3, s14, v1
	v_add_co_u32 v1, s2, s2, v0
	s_wait_alu 0xf1ff
	v_add_co_ci_u32_e64 v11, null, 0, 0, s2
	v_add_co_u32 v14, s2, v0, s0
	s_lshl_b32 s1, s0, 1
	v_add_co_u32 v7, vcc_lo, s16, v9
	v_lshlrev_b32_e32 v22, 1, v14
	v_add_co_ci_u32_e64 v16, null, 0, 0, s3
	s_wait_alu 0xfffd
	v_add_co_ci_u32_e64 v8, null, s17, v10, vcc_lo
	v_add_co_u32 v9, vcc_lo, s18, v9
	s_wait_alu 0xfffe
	v_add_co_u32 v18, s1, s1, v0
	s_wait_alu 0xfffd
	v_add_co_ci_u32_e64 v10, null, s19, v10, vcc_lo
	v_add_co_u32 v12, vcc_lo, s16, v15
	s_wait_alu 0xf1ff
	v_add_co_ci_u32_e64 v19, null, 0, 0, s1
	v_add_co_u32 v20, s1, s16, v22
	s_wait_alu 0xfffd
	v_add_co_ci_u32_e64 v13, null, s17, v16, vcc_lo
	v_add_co_u32 v15, vcc_lo, s18, v15
	s_wait_alu 0xf1ff
	v_add_co_ci_u32_e64 v21, null, s17, 0, s1
	v_add_co_u32 v22, s1, s18, v22
	s_wait_alu 0xfffd
	v_add_co_ci_u32_e64 v16, null, s19, v16, vcc_lo
	v_add_co_ci_u32_e64 v17, null, 0, 0, s2
	s_wait_alu 0xf1ff
	v_add_co_ci_u32_e64 v23, null, s19, 0, s1
	s_lshl_b32 s7, s0, 3
	s_mov_b64 s[16:17], 0
	s_branch .LBB16_9
.LBB16_8:                               ;   in Loop: Header=BB16_9 Depth=1
	s_wait_alu 0xfffe
	s_or_b32 exec_lo, exec_lo, s0
	v_add_co_u32 v3, vcc_lo, v3, s7
	s_wait_alu 0xfffd
	v_add_co_ci_u32_e64 v4, null, 0, v4, vcc_lo
	v_add_co_u32 v5, vcc_lo, v5, s7
	s_wait_alu 0xfffd
	v_add_co_ci_u32_e64 v6, null, 0, v6, vcc_lo
	;; [unrolled: 3-line block ×5, first 2 shown]
	v_add_co_u32 v15, vcc_lo, v15, s7
	s_add_nc_u64 s[16:17], s[16:17], s[14:15]
	s_wait_alu 0xfffd
	v_add_co_ci_u32_e64 v16, null, 0, v16, vcc_lo
	v_add_co_u32 v20, vcc_lo, v20, s7
	s_wait_alu 0xfffe
	v_cmp_ge_i64_e64 s0, s[16:17], s[10:11]
	s_wait_alu 0xfffd
	v_add_co_ci_u32_e64 v21, null, 0, v21, vcc_lo
	v_add_co_u32 v22, vcc_lo, v22, s7
	s_wait_alu 0xfffd
	v_add_co_ci_u32_e64 v23, null, 0, v23, vcc_lo
	s_and_b32 vcc_lo, exec_lo, s0
	s_wait_alu 0xfffe
	s_cbranch_vccnz .LBB16_25
.LBB16_9:                               ; =>This Inner Loop Header: Depth=1
	s_wait_alu 0xfffe
	v_add_co_u32 v26, s0, v0, s16
	s_wait_alu 0xf1ff
	v_add_co_ci_u32_e64 v27, null, 0, s17, s0
	v_and_b32_e32 v25, 0xffff0000, v25
	s_delay_alu instid0(VALU_DEP_2)
	v_cmp_gt_u64_e32 vcc_lo, s[12:13], v[26:27]
	s_and_saveexec_b32 s1, vcc_lo
	s_cbranch_execz .LBB16_11
; %bb.10:                               ;   in Loop: Header=BB16_9 Depth=1
	v_add_co_u32 v26, s0, v3, s8
	s_wait_alu 0xf1ff
	v_add_co_ci_u32_e64 v27, null, s9, v4, s0
	global_load_d16_b16 v25, v[26:27], off
.LBB16_11:                              ;   in Loop: Header=BB16_9 Depth=1
	s_wait_alu 0xfffe
	s_or_b32 exec_lo, exec_lo, s1
	v_add_co_u32 v26, s0, v14, s16
	s_wait_alu 0xf1ff
	v_add_co_ci_u32_e64 v27, null, s17, v17, s0
	s_wait_loadcnt 0x0
	v_and_b32_e32 v25, 0xffff, v25
	s_delay_alu instid0(VALU_DEP_2)
	v_cmp_gt_u64_e64 s0, s[12:13], v[26:27]
	s_and_saveexec_b32 s2, s0
	s_cbranch_execz .LBB16_13
; %bb.12:                               ;   in Loop: Header=BB16_9 Depth=1
	v_add_co_u32 v26, s1, v20, s8
	s_wait_alu 0xf1ff
	v_add_co_ci_u32_e64 v27, null, s9, v21, s1
	global_load_d16_hi_b16 v25, v[26:27], off
.LBB16_13:                              ;   in Loop: Header=BB16_9 Depth=1
	s_wait_alu 0xfffe
	s_or_b32 exec_lo, exec_lo, s2
	v_add_co_u32 v26, s1, v18, s16
	s_wait_alu 0xf1ff
	v_add_co_ci_u32_e64 v27, null, s17, v19, s1
	v_and_b32_e32 v24, 0xffff0000, v24
	s_delay_alu instid0(VALU_DEP_2)
	v_cmp_gt_u64_e64 s1, s[12:13], v[26:27]
	s_and_saveexec_b32 s3, s1
	s_cbranch_execz .LBB16_15
; %bb.14:                               ;   in Loop: Header=BB16_9 Depth=1
	v_add_co_u32 v26, s2, v12, s8
	s_wait_alu 0xf1ff
	v_add_co_ci_u32_e64 v27, null, s9, v13, s2
	global_load_d16_b16 v24, v[26:27], off
.LBB16_15:                              ;   in Loop: Header=BB16_9 Depth=1
	s_wait_alu 0xfffe
	s_or_b32 exec_lo, exec_lo, s3
	v_add_co_u32 v26, s2, v1, s16
	s_wait_alu 0xf1ff
	v_add_co_ci_u32_e64 v27, null, s17, v11, s2
	s_wait_loadcnt 0x0
	v_and_b32_e32 v24, 0xffff, v24
	s_delay_alu instid0(VALU_DEP_2)
	v_cmp_gt_u64_e64 s2, s[12:13], v[26:27]
	s_and_saveexec_b32 s18, s2
	s_cbranch_execz .LBB16_17
; %bb.16:                               ;   in Loop: Header=BB16_9 Depth=1
	v_add_co_u32 v26, s3, v7, s8
	s_wait_alu 0xf1ff
	v_add_co_ci_u32_e64 v27, null, s9, v8, s3
	global_load_d16_hi_b16 v24, v[26:27], off
.LBB16_17:                              ;   in Loop: Header=BB16_9 Depth=1
	s_wait_alu 0xfffe
	s_or_b32 exec_lo, exec_lo, s18
	global_load_u16 v26, v2, s[4:5]
	s_wait_loadcnt 0x0
	v_mul_lo_u32 v26, v26, s6
	s_delay_alu instid0(VALU_DEP_1)
	v_pk_add_u16 v25, v26, v25 op_sel_hi:[0,1]
	s_and_saveexec_b32 s3, vcc_lo
	s_cbranch_execnz .LBB16_21
; %bb.18:                               ;   in Loop: Header=BB16_9 Depth=1
	s_wait_alu 0xfffe
	s_or_b32 exec_lo, exec_lo, s3
	s_and_saveexec_b32 s3, s0
	s_cbranch_execnz .LBB16_22
.LBB16_19:                              ;   in Loop: Header=BB16_9 Depth=1
	s_wait_alu 0xfffe
	s_or_b32 exec_lo, exec_lo, s3
	v_pk_add_u16 v24, v26, v24 op_sel_hi:[0,1]
	s_and_saveexec_b32 s0, s1
	s_cbranch_execnz .LBB16_23
.LBB16_20:                              ;   in Loop: Header=BB16_9 Depth=1
	s_wait_alu 0xfffe
	s_or_b32 exec_lo, exec_lo, s0
	s_and_saveexec_b32 s0, s2
	s_cbranch_execz .LBB16_8
	s_branch .LBB16_24
.LBB16_21:                              ;   in Loop: Header=BB16_9 Depth=1
	v_add_co_u32 v27, vcc_lo, v5, s8
	s_wait_alu 0xfffd
	v_add_co_ci_u32_e64 v28, null, s9, v6, vcc_lo
	global_store_b16 v[27:28], v25, off
	s_wait_alu 0xfffe
	s_or_b32 exec_lo, exec_lo, s3
	s_and_saveexec_b32 s3, s0
	s_cbranch_execz .LBB16_19
.LBB16_22:                              ;   in Loop: Header=BB16_9 Depth=1
	v_add_co_u32 v27, vcc_lo, v22, s8
	s_wait_alu 0xfffd
	v_add_co_ci_u32_e64 v28, null, s9, v23, vcc_lo
	global_store_d16_hi_b16 v[27:28], v25, off
	s_wait_alu 0xfffe
	s_or_b32 exec_lo, exec_lo, s3
	v_pk_add_u16 v24, v26, v24 op_sel_hi:[0,1]
	s_and_saveexec_b32 s0, s1
	s_cbranch_execz .LBB16_20
.LBB16_23:                              ;   in Loop: Header=BB16_9 Depth=1
	v_add_co_u32 v26, vcc_lo, v15, s8
	s_wait_alu 0xfffd
	v_add_co_ci_u32_e64 v27, null, s9, v16, vcc_lo
	global_store_b16 v[26:27], v24, off
	s_wait_alu 0xfffe
	s_or_b32 exec_lo, exec_lo, s0
	s_and_saveexec_b32 s0, s2
	s_cbranch_execz .LBB16_8
.LBB16_24:                              ;   in Loop: Header=BB16_9 Depth=1
	v_add_co_u32 v26, vcc_lo, v9, s8
	s_wait_alu 0xfffd
	v_add_co_ci_u32_e64 v27, null, s9, v10, vcc_lo
	global_store_d16_hi_b16 v[26:27], v24, off
	s_branch .LBB16_8
.LBB16_25:
	s_endpgm
	.section	.rodata,"a",@progbits
	.p2align	6, 0x0
	.amdhsa_kernel _ZN2at6native12_GLOBAL__N_125multi_tensor_apply_kernelINS1_18TensorListMetadataILi2EEENS1_27BinaryOpScalarTensorFunctorIsLi2ELi1ELi1EEEJSt4plusIsEPssEEEvT_T0_DpT1_
		.amdhsa_group_segment_fixed_size 0
		.amdhsa_private_segment_fixed_size 0
		.amdhsa_kernarg_size 3424
		.amdhsa_user_sgpr_count 2
		.amdhsa_user_sgpr_dispatch_ptr 0
		.amdhsa_user_sgpr_queue_ptr 0
		.amdhsa_user_sgpr_kernarg_segment_ptr 1
		.amdhsa_user_sgpr_dispatch_id 0
		.amdhsa_user_sgpr_private_segment_size 0
		.amdhsa_wavefront_size32 1
		.amdhsa_uses_dynamic_stack 0
		.amdhsa_enable_private_segment 0
		.amdhsa_system_sgpr_workgroup_id_x 1
		.amdhsa_system_sgpr_workgroup_id_y 0
		.amdhsa_system_sgpr_workgroup_id_z 0
		.amdhsa_system_sgpr_workgroup_info 0
		.amdhsa_system_vgpr_workitem_id 0
		.amdhsa_next_free_vgpr 29
		.amdhsa_next_free_sgpr 24
		.amdhsa_reserve_vcc 1
		.amdhsa_float_round_mode_32 0
		.amdhsa_float_round_mode_16_64 0
		.amdhsa_float_denorm_mode_32 3
		.amdhsa_float_denorm_mode_16_64 3
		.amdhsa_fp16_overflow 0
		.amdhsa_workgroup_processor_mode 1
		.amdhsa_memory_ordered 1
		.amdhsa_forward_progress 1
		.amdhsa_inst_pref_size 14
		.amdhsa_round_robin_scheduling 0
		.amdhsa_exception_fp_ieee_invalid_op 0
		.amdhsa_exception_fp_denorm_src 0
		.amdhsa_exception_fp_ieee_div_zero 0
		.amdhsa_exception_fp_ieee_overflow 0
		.amdhsa_exception_fp_ieee_underflow 0
		.amdhsa_exception_fp_ieee_inexact 0
		.amdhsa_exception_int_div_zero 0
	.end_amdhsa_kernel
	.section	.text._ZN2at6native12_GLOBAL__N_125multi_tensor_apply_kernelINS1_18TensorListMetadataILi2EEENS1_27BinaryOpScalarTensorFunctorIsLi2ELi1ELi1EEEJSt4plusIsEPssEEEvT_T0_DpT1_,"axG",@progbits,_ZN2at6native12_GLOBAL__N_125multi_tensor_apply_kernelINS1_18TensorListMetadataILi2EEENS1_27BinaryOpScalarTensorFunctorIsLi2ELi1ELi1EEEJSt4plusIsEPssEEEvT_T0_DpT1_,comdat
.Lfunc_end16:
	.size	_ZN2at6native12_GLOBAL__N_125multi_tensor_apply_kernelINS1_18TensorListMetadataILi2EEENS1_27BinaryOpScalarTensorFunctorIsLi2ELi1ELi1EEEJSt4plusIsEPssEEEvT_T0_DpT1_, .Lfunc_end16-_ZN2at6native12_GLOBAL__N_125multi_tensor_apply_kernelINS1_18TensorListMetadataILi2EEENS1_27BinaryOpScalarTensorFunctorIsLi2ELi1ELi1EEEJSt4plusIsEPssEEEvT_T0_DpT1_
                                        ; -- End function
	.set _ZN2at6native12_GLOBAL__N_125multi_tensor_apply_kernelINS1_18TensorListMetadataILi2EEENS1_27BinaryOpScalarTensorFunctorIsLi2ELi1ELi1EEEJSt4plusIsEPssEEEvT_T0_DpT1_.num_vgpr, 29
	.set _ZN2at6native12_GLOBAL__N_125multi_tensor_apply_kernelINS1_18TensorListMetadataILi2EEENS1_27BinaryOpScalarTensorFunctorIsLi2ELi1ELi1EEEJSt4plusIsEPssEEEvT_T0_DpT1_.num_agpr, 0
	.set _ZN2at6native12_GLOBAL__N_125multi_tensor_apply_kernelINS1_18TensorListMetadataILi2EEENS1_27BinaryOpScalarTensorFunctorIsLi2ELi1ELi1EEEJSt4plusIsEPssEEEvT_T0_DpT1_.numbered_sgpr, 24
	.set _ZN2at6native12_GLOBAL__N_125multi_tensor_apply_kernelINS1_18TensorListMetadataILi2EEENS1_27BinaryOpScalarTensorFunctorIsLi2ELi1ELi1EEEJSt4plusIsEPssEEEvT_T0_DpT1_.num_named_barrier, 0
	.set _ZN2at6native12_GLOBAL__N_125multi_tensor_apply_kernelINS1_18TensorListMetadataILi2EEENS1_27BinaryOpScalarTensorFunctorIsLi2ELi1ELi1EEEJSt4plusIsEPssEEEvT_T0_DpT1_.private_seg_size, 0
	.set _ZN2at6native12_GLOBAL__N_125multi_tensor_apply_kernelINS1_18TensorListMetadataILi2EEENS1_27BinaryOpScalarTensorFunctorIsLi2ELi1ELi1EEEJSt4plusIsEPssEEEvT_T0_DpT1_.uses_vcc, 1
	.set _ZN2at6native12_GLOBAL__N_125multi_tensor_apply_kernelINS1_18TensorListMetadataILi2EEENS1_27BinaryOpScalarTensorFunctorIsLi2ELi1ELi1EEEJSt4plusIsEPssEEEvT_T0_DpT1_.uses_flat_scratch, 0
	.set _ZN2at6native12_GLOBAL__N_125multi_tensor_apply_kernelINS1_18TensorListMetadataILi2EEENS1_27BinaryOpScalarTensorFunctorIsLi2ELi1ELi1EEEJSt4plusIsEPssEEEvT_T0_DpT1_.has_dyn_sized_stack, 0
	.set _ZN2at6native12_GLOBAL__N_125multi_tensor_apply_kernelINS1_18TensorListMetadataILi2EEENS1_27BinaryOpScalarTensorFunctorIsLi2ELi1ELi1EEEJSt4plusIsEPssEEEvT_T0_DpT1_.has_recursion, 0
	.set _ZN2at6native12_GLOBAL__N_125multi_tensor_apply_kernelINS1_18TensorListMetadataILi2EEENS1_27BinaryOpScalarTensorFunctorIsLi2ELi1ELi1EEEJSt4plusIsEPssEEEvT_T0_DpT1_.has_indirect_call, 0
	.section	.AMDGPU.csdata,"",@progbits
; Kernel info:
; codeLenInByte = 1728
; TotalNumSgprs: 26
; NumVgprs: 29
; ScratchSize: 0
; MemoryBound: 0
; FloatMode: 240
; IeeeMode: 1
; LDSByteSize: 0 bytes/workgroup (compile time only)
; SGPRBlocks: 0
; VGPRBlocks: 3
; NumSGPRsForWavesPerEU: 26
; NumVGPRsForWavesPerEU: 29
; Occupancy: 16
; WaveLimiterHint : 0
; COMPUTE_PGM_RSRC2:SCRATCH_EN: 0
; COMPUTE_PGM_RSRC2:USER_SGPR: 2
; COMPUTE_PGM_RSRC2:TRAP_HANDLER: 0
; COMPUTE_PGM_RSRC2:TGID_X_EN: 1
; COMPUTE_PGM_RSRC2:TGID_Y_EN: 0
; COMPUTE_PGM_RSRC2:TGID_Z_EN: 0
; COMPUTE_PGM_RSRC2:TIDIG_COMP_CNT: 0
	.section	.text._ZN2at6native12_GLOBAL__N_125multi_tensor_apply_kernelINS1_18TensorListMetadataILi2EEENS1_27BinaryOpScalarTensorFunctorIdLi2ELi1ELi1EEEJSt4plusIdEPddEEEvT_T0_DpT1_,"axG",@progbits,_ZN2at6native12_GLOBAL__N_125multi_tensor_apply_kernelINS1_18TensorListMetadataILi2EEENS1_27BinaryOpScalarTensorFunctorIdLi2ELi1ELi1EEEJSt4plusIdEPddEEEvT_T0_DpT1_,comdat
	.globl	_ZN2at6native12_GLOBAL__N_125multi_tensor_apply_kernelINS1_18TensorListMetadataILi2EEENS1_27BinaryOpScalarTensorFunctorIdLi2ELi1ELi1EEEJSt4plusIdEPddEEEvT_T0_DpT1_ ; -- Begin function _ZN2at6native12_GLOBAL__N_125multi_tensor_apply_kernelINS1_18TensorListMetadataILi2EEENS1_27BinaryOpScalarTensorFunctorIdLi2ELi1ELi1EEEJSt4plusIdEPddEEEvT_T0_DpT1_
	.p2align	8
	.type	_ZN2at6native12_GLOBAL__N_125multi_tensor_apply_kernelINS1_18TensorListMetadataILi2EEENS1_27BinaryOpScalarTensorFunctorIdLi2ELi1ELi1EEEJSt4plusIdEPddEEEvT_T0_DpT1_,@function
_ZN2at6native12_GLOBAL__N_125multi_tensor_apply_kernelINS1_18TensorListMetadataILi2EEENS1_27BinaryOpScalarTensorFunctorIdLi2ELi1ELi1EEEJSt4plusIdEPddEEEvT_T0_DpT1_: ; @_ZN2at6native12_GLOBAL__N_125multi_tensor_apply_kernelINS1_18TensorListMetadataILi2EEENS1_27BinaryOpScalarTensorFunctorIdLi2ELi1ELi1EEEJSt4plusIdEPddEEEvT_T0_DpT1_
; %bb.0:
	s_mov_b32 s2, ttmp9
	s_mov_b32 s3, 0
	s_delay_alu instid0(SALU_CYCLE_1)
	s_mul_u64 s[4:5], s[2:3], 3
	s_add_nc_u64 s[6:7], s[0:1], s[2:3]
	s_mov_b32 s15, s3
	s_add_nc_u64 s[4:5], s[6:7], s[4:5]
	s_clause 0x1
	s_load_b32 s10, s[4:5], 0x740
	s_load_u8 s2, s[0:1], ttmp9 offset:0x600
	s_mov_b32 s21, s3
	s_wait_kmcnt 0x0
	s_ashr_i32 s11, s10, 31
	s_lshl_b32 s2, s2, 3
	s_clause 0x3
	s_load_b64 s[16:17], s[0:1], s2 offset:0x0
	s_load_b64 s[18:19], s[0:1], s2 offset:0x200
	;; [unrolled: 1-line block ×3, first 2 shown]
	s_load_b128 s[4:7], s[0:1], 0xc50
	s_lshl_b64 s[8:9], s[10:11], 19
	s_lshl_b64 s[10:11], s[10:11], 16
	s_wait_kmcnt 0x0
	s_add_nc_u64 s[22:23], s[16:17], s[8:9]
	s_and_b32 s14, s18, 31
	s_and_b32 s20, s12, 3
	;; [unrolled: 1-line block ×3, first 2 shown]
	s_or_b64 s[14:15], s[14:15], s[20:21]
	s_delay_alu instid0(SALU_CYCLE_1)
	s_or_b64 s[2:3], s[14:15], s[2:3]
	s_sub_nc_u64 s[14:15], s[12:13], s[10:11]
	s_cmp_eq_u64 s[2:3], 0
	s_mov_b32 s2, -1
	s_cbranch_scc0 .LBB17_5
; %bb.1:
	v_cmp_gt_i64_e64 s2, 0x10000, s[14:15]
	v_dual_mov_b32 v2, 0 :: v_dual_lshlrev_b32 v1, 2, v0
	s_mov_b32 s3, exec_lo
	s_and_b32 s2, s2, exec_lo
	s_cselect_b32 s11, s15, 0
	s_cselect_b32 s10, s14, 0x10000
	s_delay_alu instid0(SALU_CYCLE_1)
	v_cmpx_gt_i64_e64 s[10:11], v[1:2]
	s_cbranch_execz .LBB17_4
; %bb.2:
	s_load_b32 s2, s[0:1], 0xc6c
	v_lshlrev_b32_e32 v3, 5, v0
	v_mov_b32_e32 v1, v2
	s_mov_b32 s13, 0
	s_delay_alu instid0(VALU_DEP_2) | instskip(NEXT) | instid1(VALU_DEP_1)
	v_add_co_u32 v5, s12, s8, v3
	v_add_co_ci_u32_e64 v6, null, s9, 0, s12
	s_delay_alu instid0(VALU_DEP_3)
	v_dual_mov_b32 v4, v1 :: v_dual_mov_b32 v3, v0
	s_wait_kmcnt 0x0
	s_and_b32 s12, s2, 0xffff
	s_wait_alu 0xfffe
	s_lshl_b32 s20, s12, 5
.LBB17_3:                               ; =>This Inner Loop Header: Depth=1
	v_add_co_u32 v11, vcc_lo, s16, v5
	s_wait_alu 0xfffd
	v_add_co_ci_u32_e64 v12, null, s17, v6, vcc_lo
	v_add_co_u32 v3, vcc_lo, v3, s12
	global_load_b64 v[15:16], v2, s[4:5]
	s_clause 0x1
	global_load_b128 v[7:10], v[11:12], off
	global_load_b128 v[11:14], v[11:12], off offset:16
	s_wait_alu 0xfffd
	v_add_co_ci_u32_e64 v4, null, 0, v4, vcc_lo
	v_add_co_u32 v17, vcc_lo, s18, v5
	s_wait_alu 0xfffd
	v_add_co_ci_u32_e64 v18, null, s19, v6, vcc_lo
	v_add_co_u32 v5, s2, v5, s20
	s_wait_alu 0xf1ff
	v_add_co_ci_u32_e64 v6, null, 0, v6, s2
	s_wait_loadcnt 0x1
	v_fma_f64 v[7:8], s[6:7], v[15:16], v[7:8]
	v_fma_f64 v[9:10], s[6:7], v[15:16], v[9:10]
	s_wait_loadcnt 0x0
	v_fma_f64 v[11:12], s[6:7], v[15:16], v[11:12]
	v_fma_f64 v[13:14], s[6:7], v[15:16], v[13:14]
	v_lshlrev_b64_e32 v[15:16], 2, v[3:4]
	s_clause 0x1
	global_store_b128 v[17:18], v[7:10], off
	global_store_b128 v[17:18], v[11:14], off offset:16
	v_cmp_le_i64_e32 vcc_lo, s[10:11], v[15:16]
	s_or_b32 s13, vcc_lo, s13
	s_wait_alu 0xfffe
	s_and_not1_b32 exec_lo, exec_lo, s13
	s_cbranch_execnz .LBB17_3
.LBB17_4:
	s_or_b32 exec_lo, exec_lo, s3
	s_mov_b32 s2, 0
.LBB17_5:
	s_wait_alu 0xfffe
	s_and_not1_b32 vcc_lo, exec_lo, s2
	s_wait_alu 0xfffe
	s_cbranch_vccnz .LBB17_25
; %bb.6:
	v_cmp_lt_i64_e64 s2, s[14:15], 1
	s_and_b32 vcc_lo, exec_lo, s2
	s_wait_alu 0xfffe
	s_cbranch_vccnz .LBB17_25
; %bb.7:
	s_load_b32 s0, s[0:1], 0xc6c
	v_cmp_gt_i64_e64 s1, 0x10000, s[14:15]
	v_dual_mov_b32 v2, 0 :: v_dual_lshlrev_b32 v1, 3, v0
	v_cmp_gt_u64_e64 s2, 0x10000, s[14:15]
	s_mov_b32 s11, 0
	s_and_b32 s1, s1, exec_lo
	s_cselect_b32 s13, s15, 0
	s_cselect_b32 s12, s14, 0x10000
	v_add_co_u32 v15, s1, s18, v1
	v_add_co_u32 v13, s3, s16, v1
	v_add_co_ci_u32_e64 v16, null, s19, 0, s1
	s_wait_alu 0xf1ff
	v_add_co_ci_u32_e64 v14, null, s17, 0, s3
	s_wait_kmcnt 0x0
	s_and_b32 s0, s0, 0xffff
	s_and_b32 s1, s2, exec_lo
	s_wait_alu 0xfffe
	v_mad_co_u64_u32 v[3:4], null, s0, 24, v[1:2]
	s_cselect_b32 s15, s15, 0
	s_cselect_b32 s14, s14, 0x10000
	s_mul_i32 s2, s0, 3
	s_lshl_b32 s3, s0, 4
	s_lshl_b32 s1, s0, 1
	;; [unrolled: 1-line block ×3, first 2 shown]
	v_add_co_u32 v17, vcc_lo, s16, v3
	s_wait_alu 0xfffd
	v_add_co_ci_u32_e64 v18, null, s17, v4, vcc_lo
	v_add_co_u32 v19, vcc_lo, s18, v3
	s_wait_alu 0xfffe
	v_add_co_u32 v3, s3, s3, v1
	v_add_co_u32 v1, s2, s2, v0
	s_wait_alu 0xfffd
	v_add_co_ci_u32_e64 v20, null, s19, v4, vcc_lo
	s_wait_alu 0xf1ff
	v_add_co_ci_u32_e64 v4, null, 0, 0, s3
	v_add_co_ci_u32_e64 v21, null, 0, 0, s2
	v_add_co_u32 v24, s2, v0, s0
	v_add_co_u32 v22, vcc_lo, s16, v3
	s_wait_alu 0xfffd
	v_add_co_ci_u32_e64 v23, null, s17, v4, vcc_lo
	v_add_co_u32 v25, vcc_lo, s18, v3
	v_lshlrev_b32_e32 v3, 3, v24
	v_add_co_u32 v28, s1, s1, v0
	s_wait_alu 0xf1ff
	v_add_co_ci_u32_e64 v29, null, 0, 0, s1
	s_delay_alu instid0(VALU_DEP_3)
	v_add_co_u32 v30, s1, s16, v3
	s_wait_alu 0xf1ff
	v_add_co_ci_u32_e64 v31, null, s17, 0, s1
	v_add_co_u32 v32, s1, s18, v3
	s_wait_alu 0xfffd
	v_add_co_ci_u32_e64 v26, null, s19, v4, vcc_lo
	v_add_co_ci_u32_e64 v27, null, 0, 0, s2
	s_wait_alu 0xf1ff
	v_add_co_ci_u32_e64 v33, null, s19, 0, s1
	s_lshl_b32 s18, s0, 5
	s_mov_b64 s[16:17], 0
	s_branch .LBB17_9
.LBB17_8:                               ;   in Loop: Header=BB17_9 Depth=1
	s_wait_alu 0xfffe
	s_or_b32 exec_lo, exec_lo, s0
	v_add_co_u32 v13, vcc_lo, v13, s18
	s_wait_alu 0xfffd
	v_add_co_ci_u32_e64 v14, null, 0, v14, vcc_lo
	v_add_co_u32 v15, vcc_lo, v15, s18
	s_wait_alu 0xfffd
	v_add_co_ci_u32_e64 v16, null, 0, v16, vcc_lo
	;; [unrolled: 3-line block ×5, first 2 shown]
	v_add_co_u32 v25, vcc_lo, v25, s18
	s_add_nc_u64 s[16:17], s[16:17], s[10:11]
	s_wait_alu 0xfffd
	v_add_co_ci_u32_e64 v26, null, 0, v26, vcc_lo
	v_add_co_u32 v30, vcc_lo, v30, s18
	s_wait_alu 0xfffe
	v_cmp_ge_i64_e64 s0, s[16:17], s[12:13]
	s_wait_alu 0xfffd
	v_add_co_ci_u32_e64 v31, null, 0, v31, vcc_lo
	v_add_co_u32 v32, vcc_lo, v32, s18
	s_wait_alu 0xfffd
	v_add_co_ci_u32_e64 v33, null, 0, v33, vcc_lo
	s_and_b32 vcc_lo, exec_lo, s0
	s_wait_alu 0xfffe
	s_cbranch_vccnz .LBB17_25
.LBB17_9:                               ; =>This Inner Loop Header: Depth=1
	s_wait_alu 0xfffe
	v_add_co_u32 v5, s0, v0, s16
	s_wait_alu 0xf1ff
	v_add_co_ci_u32_e64 v6, null, 0, s17, s0
	v_mov_b32_e32 v3, 0
	v_mov_b32_e32 v4, 0
	s_delay_alu instid0(VALU_DEP_3)
	v_cmp_gt_u64_e32 vcc_lo, s[14:15], v[5:6]
	v_mov_b32_e32 v5, 0
	v_mov_b32_e32 v6, 0
	s_and_saveexec_b32 s1, vcc_lo
	s_cbranch_execz .LBB17_11
; %bb.10:                               ;   in Loop: Header=BB17_9 Depth=1
	v_add_co_u32 v5, s0, v13, s8
	s_wait_alu 0xf1ff
	v_add_co_ci_u32_e64 v6, null, s9, v14, s0
	global_load_b64 v[5:6], v[5:6], off
.LBB17_11:                              ;   in Loop: Header=BB17_9 Depth=1
	s_wait_alu 0xfffe
	s_or_b32 exec_lo, exec_lo, s1
	v_add_co_u32 v7, s0, v24, s16
	s_wait_alu 0xf1ff
	v_add_co_ci_u32_e64 v8, null, s17, v27, s0
	s_delay_alu instid0(VALU_DEP_1)
	v_cmp_gt_u64_e64 s0, s[14:15], v[7:8]
	s_and_saveexec_b32 s2, s0
	s_cbranch_execz .LBB17_13
; %bb.12:                               ;   in Loop: Header=BB17_9 Depth=1
	v_add_co_u32 v3, s1, v30, s8
	s_wait_alu 0xf1ff
	v_add_co_ci_u32_e64 v4, null, s9, v31, s1
	global_load_b64 v[3:4], v[3:4], off
.LBB17_13:                              ;   in Loop: Header=BB17_9 Depth=1
	s_wait_alu 0xfffe
	s_or_b32 exec_lo, exec_lo, s2
	v_add_co_u32 v9, s1, v28, s16
	s_wait_alu 0xf1ff
	v_add_co_ci_u32_e64 v10, null, s17, v29, s1
	v_mov_b32_e32 v7, 0
	v_mov_b32_e32 v8, 0
	s_delay_alu instid0(VALU_DEP_3)
	v_cmp_gt_u64_e64 s1, s[14:15], v[9:10]
	v_mov_b32_e32 v9, 0
	v_mov_b32_e32 v10, 0
	s_and_saveexec_b32 s3, s1
	s_cbranch_execz .LBB17_15
; %bb.14:                               ;   in Loop: Header=BB17_9 Depth=1
	v_add_co_u32 v9, s2, v22, s8
	s_wait_alu 0xf1ff
	v_add_co_ci_u32_e64 v10, null, s9, v23, s2
	global_load_b64 v[9:10], v[9:10], off
.LBB17_15:                              ;   in Loop: Header=BB17_9 Depth=1
	s_wait_alu 0xfffe
	s_or_b32 exec_lo, exec_lo, s3
	v_add_co_u32 v11, s2, v1, s16
	s_wait_alu 0xf1ff
	v_add_co_ci_u32_e64 v12, null, s17, v21, s2
	s_delay_alu instid0(VALU_DEP_1)
	v_cmp_gt_u64_e64 s2, s[14:15], v[11:12]
	s_and_saveexec_b32 s19, s2
	s_cbranch_execz .LBB17_17
; %bb.16:                               ;   in Loop: Header=BB17_9 Depth=1
	v_add_co_u32 v7, s3, v17, s8
	s_wait_alu 0xf1ff
	v_add_co_ci_u32_e64 v8, null, s9, v18, s3
	global_load_b64 v[7:8], v[7:8], off
.LBB17_17:                              ;   in Loop: Header=BB17_9 Depth=1
	s_wait_alu 0xfffe
	s_or_b32 exec_lo, exec_lo, s19
	global_load_b64 v[11:12], v2, s[4:5]
	s_wait_loadcnt 0x0
	v_mul_f64_e32 v[11:12], s[6:7], v[11:12]
	s_and_saveexec_b32 s3, vcc_lo
	s_cbranch_execnz .LBB17_21
; %bb.18:                               ;   in Loop: Header=BB17_9 Depth=1
	s_wait_alu 0xfffe
	s_or_b32 exec_lo, exec_lo, s3
	s_and_saveexec_b32 s3, s0
	s_cbranch_execnz .LBB17_22
.LBB17_19:                              ;   in Loop: Header=BB17_9 Depth=1
	s_wait_alu 0xfffe
	s_or_b32 exec_lo, exec_lo, s3
	s_and_saveexec_b32 s0, s1
	s_cbranch_execnz .LBB17_23
.LBB17_20:                              ;   in Loop: Header=BB17_9 Depth=1
	s_wait_alu 0xfffe
	s_or_b32 exec_lo, exec_lo, s0
	s_and_saveexec_b32 s0, s2
	s_cbranch_execz .LBB17_8
	s_branch .LBB17_24
.LBB17_21:                              ;   in Loop: Header=BB17_9 Depth=1
	s_delay_alu instid0(VALU_DEP_1)
	v_add_f64_e32 v[5:6], v[5:6], v[11:12]
	v_add_co_u32 v34, vcc_lo, v15, s8
	s_wait_alu 0xfffd
	v_add_co_ci_u32_e64 v35, null, s9, v16, vcc_lo
	global_store_b64 v[34:35], v[5:6], off
	s_wait_alu 0xfffe
	s_or_b32 exec_lo, exec_lo, s3
	s_and_saveexec_b32 s3, s0
	s_cbranch_execz .LBB17_19
.LBB17_22:                              ;   in Loop: Header=BB17_9 Depth=1
	s_delay_alu instid0(VALU_DEP_1)
	v_add_f64_e32 v[3:4], v[3:4], v[11:12]
	v_add_co_u32 v5, vcc_lo, v32, s8
	s_wait_alu 0xfffd
	v_add_co_ci_u32_e64 v6, null, s9, v33, vcc_lo
	global_store_b64 v[5:6], v[3:4], off
	s_wait_alu 0xfffe
	s_or_b32 exec_lo, exec_lo, s3
	s_and_saveexec_b32 s0, s1
	s_cbranch_execz .LBB17_20
.LBB17_23:                              ;   in Loop: Header=BB17_9 Depth=1
	s_delay_alu instid0(VALU_DEP_1)
	v_add_f64_e32 v[3:4], v[9:10], v[11:12]
	v_add_co_u32 v5, vcc_lo, v25, s8
	s_wait_alu 0xfffd
	v_add_co_ci_u32_e64 v6, null, s9, v26, vcc_lo
	global_store_b64 v[5:6], v[3:4], off
	s_wait_alu 0xfffe
	s_or_b32 exec_lo, exec_lo, s0
	s_and_saveexec_b32 s0, s2
	s_cbranch_execz .LBB17_8
.LBB17_24:                              ;   in Loop: Header=BB17_9 Depth=1
	s_delay_alu instid0(VALU_DEP_1)
	v_add_f64_e32 v[3:4], v[7:8], v[11:12]
	v_add_co_u32 v5, vcc_lo, v19, s8
	s_wait_alu 0xfffd
	v_add_co_ci_u32_e64 v6, null, s9, v20, vcc_lo
	global_store_b64 v[5:6], v[3:4], off
	s_branch .LBB17_8
.LBB17_25:
	s_endpgm
	.section	.rodata,"a",@progbits
	.p2align	6, 0x0
	.amdhsa_kernel _ZN2at6native12_GLOBAL__N_125multi_tensor_apply_kernelINS1_18TensorListMetadataILi2EEENS1_27BinaryOpScalarTensorFunctorIdLi2ELi1ELi1EEEJSt4plusIdEPddEEEvT_T0_DpT1_
		.amdhsa_group_segment_fixed_size 0
		.amdhsa_private_segment_fixed_size 0
		.amdhsa_kernarg_size 3424
		.amdhsa_user_sgpr_count 2
		.amdhsa_user_sgpr_dispatch_ptr 0
		.amdhsa_user_sgpr_queue_ptr 0
		.amdhsa_user_sgpr_kernarg_segment_ptr 1
		.amdhsa_user_sgpr_dispatch_id 0
		.amdhsa_user_sgpr_private_segment_size 0
		.amdhsa_wavefront_size32 1
		.amdhsa_uses_dynamic_stack 0
		.amdhsa_enable_private_segment 0
		.amdhsa_system_sgpr_workgroup_id_x 1
		.amdhsa_system_sgpr_workgroup_id_y 0
		.amdhsa_system_sgpr_workgroup_id_z 0
		.amdhsa_system_sgpr_workgroup_info 0
		.amdhsa_system_vgpr_workitem_id 0
		.amdhsa_next_free_vgpr 36
		.amdhsa_next_free_sgpr 24
		.amdhsa_reserve_vcc 1
		.amdhsa_float_round_mode_32 0
		.amdhsa_float_round_mode_16_64 0
		.amdhsa_float_denorm_mode_32 3
		.amdhsa_float_denorm_mode_16_64 3
		.amdhsa_fp16_overflow 0
		.amdhsa_workgroup_processor_mode 1
		.amdhsa_memory_ordered 1
		.amdhsa_forward_progress 1
		.amdhsa_inst_pref_size 14
		.amdhsa_round_robin_scheduling 0
		.amdhsa_exception_fp_ieee_invalid_op 0
		.amdhsa_exception_fp_denorm_src 0
		.amdhsa_exception_fp_ieee_div_zero 0
		.amdhsa_exception_fp_ieee_overflow 0
		.amdhsa_exception_fp_ieee_underflow 0
		.amdhsa_exception_fp_ieee_inexact 0
		.amdhsa_exception_int_div_zero 0
	.end_amdhsa_kernel
	.section	.text._ZN2at6native12_GLOBAL__N_125multi_tensor_apply_kernelINS1_18TensorListMetadataILi2EEENS1_27BinaryOpScalarTensorFunctorIdLi2ELi1ELi1EEEJSt4plusIdEPddEEEvT_T0_DpT1_,"axG",@progbits,_ZN2at6native12_GLOBAL__N_125multi_tensor_apply_kernelINS1_18TensorListMetadataILi2EEENS1_27BinaryOpScalarTensorFunctorIdLi2ELi1ELi1EEEJSt4plusIdEPddEEEvT_T0_DpT1_,comdat
.Lfunc_end17:
	.size	_ZN2at6native12_GLOBAL__N_125multi_tensor_apply_kernelINS1_18TensorListMetadataILi2EEENS1_27BinaryOpScalarTensorFunctorIdLi2ELi1ELi1EEEJSt4plusIdEPddEEEvT_T0_DpT1_, .Lfunc_end17-_ZN2at6native12_GLOBAL__N_125multi_tensor_apply_kernelINS1_18TensorListMetadataILi2EEENS1_27BinaryOpScalarTensorFunctorIdLi2ELi1ELi1EEEJSt4plusIdEPddEEEvT_T0_DpT1_
                                        ; -- End function
	.set _ZN2at6native12_GLOBAL__N_125multi_tensor_apply_kernelINS1_18TensorListMetadataILi2EEENS1_27BinaryOpScalarTensorFunctorIdLi2ELi1ELi1EEEJSt4plusIdEPddEEEvT_T0_DpT1_.num_vgpr, 36
	.set _ZN2at6native12_GLOBAL__N_125multi_tensor_apply_kernelINS1_18TensorListMetadataILi2EEENS1_27BinaryOpScalarTensorFunctorIdLi2ELi1ELi1EEEJSt4plusIdEPddEEEvT_T0_DpT1_.num_agpr, 0
	.set _ZN2at6native12_GLOBAL__N_125multi_tensor_apply_kernelINS1_18TensorListMetadataILi2EEENS1_27BinaryOpScalarTensorFunctorIdLi2ELi1ELi1EEEJSt4plusIdEPddEEEvT_T0_DpT1_.numbered_sgpr, 24
	.set _ZN2at6native12_GLOBAL__N_125multi_tensor_apply_kernelINS1_18TensorListMetadataILi2EEENS1_27BinaryOpScalarTensorFunctorIdLi2ELi1ELi1EEEJSt4plusIdEPddEEEvT_T0_DpT1_.num_named_barrier, 0
	.set _ZN2at6native12_GLOBAL__N_125multi_tensor_apply_kernelINS1_18TensorListMetadataILi2EEENS1_27BinaryOpScalarTensorFunctorIdLi2ELi1ELi1EEEJSt4plusIdEPddEEEvT_T0_DpT1_.private_seg_size, 0
	.set _ZN2at6native12_GLOBAL__N_125multi_tensor_apply_kernelINS1_18TensorListMetadataILi2EEENS1_27BinaryOpScalarTensorFunctorIdLi2ELi1ELi1EEEJSt4plusIdEPddEEEvT_T0_DpT1_.uses_vcc, 1
	.set _ZN2at6native12_GLOBAL__N_125multi_tensor_apply_kernelINS1_18TensorListMetadataILi2EEENS1_27BinaryOpScalarTensorFunctorIdLi2ELi1ELi1EEEJSt4plusIdEPddEEEvT_T0_DpT1_.uses_flat_scratch, 0
	.set _ZN2at6native12_GLOBAL__N_125multi_tensor_apply_kernelINS1_18TensorListMetadataILi2EEENS1_27BinaryOpScalarTensorFunctorIdLi2ELi1ELi1EEEJSt4plusIdEPddEEEvT_T0_DpT1_.has_dyn_sized_stack, 0
	.set _ZN2at6native12_GLOBAL__N_125multi_tensor_apply_kernelINS1_18TensorListMetadataILi2EEENS1_27BinaryOpScalarTensorFunctorIdLi2ELi1ELi1EEEJSt4plusIdEPddEEEvT_T0_DpT1_.has_recursion, 0
	.set _ZN2at6native12_GLOBAL__N_125multi_tensor_apply_kernelINS1_18TensorListMetadataILi2EEENS1_27BinaryOpScalarTensorFunctorIdLi2ELi1ELi1EEEJSt4plusIdEPddEEEvT_T0_DpT1_.has_indirect_call, 0
	.section	.AMDGPU.csdata,"",@progbits
; Kernel info:
; codeLenInByte = 1752
; TotalNumSgprs: 26
; NumVgprs: 36
; ScratchSize: 0
; MemoryBound: 0
; FloatMode: 240
; IeeeMode: 1
; LDSByteSize: 0 bytes/workgroup (compile time only)
; SGPRBlocks: 0
; VGPRBlocks: 4
; NumSGPRsForWavesPerEU: 26
; NumVGPRsForWavesPerEU: 36
; Occupancy: 16
; WaveLimiterHint : 0
; COMPUTE_PGM_RSRC2:SCRATCH_EN: 0
; COMPUTE_PGM_RSRC2:USER_SGPR: 2
; COMPUTE_PGM_RSRC2:TRAP_HANDLER: 0
; COMPUTE_PGM_RSRC2:TGID_X_EN: 1
; COMPUTE_PGM_RSRC2:TGID_Y_EN: 0
; COMPUTE_PGM_RSRC2:TGID_Z_EN: 0
; COMPUTE_PGM_RSRC2:TIDIG_COMP_CNT: 0
	.section	.text._ZN2at6native12_GLOBAL__N_125multi_tensor_apply_kernelINS1_18TensorListMetadataILi2EEENS1_27BinaryOpScalarTensorFunctorIfLi2ELi1ELi1EEEJSt4plusIfEPffEEEvT_T0_DpT1_,"axG",@progbits,_ZN2at6native12_GLOBAL__N_125multi_tensor_apply_kernelINS1_18TensorListMetadataILi2EEENS1_27BinaryOpScalarTensorFunctorIfLi2ELi1ELi1EEEJSt4plusIfEPffEEEvT_T0_DpT1_,comdat
	.globl	_ZN2at6native12_GLOBAL__N_125multi_tensor_apply_kernelINS1_18TensorListMetadataILi2EEENS1_27BinaryOpScalarTensorFunctorIfLi2ELi1ELi1EEEJSt4plusIfEPffEEEvT_T0_DpT1_ ; -- Begin function _ZN2at6native12_GLOBAL__N_125multi_tensor_apply_kernelINS1_18TensorListMetadataILi2EEENS1_27BinaryOpScalarTensorFunctorIfLi2ELi1ELi1EEEJSt4plusIfEPffEEEvT_T0_DpT1_
	.p2align	8
	.type	_ZN2at6native12_GLOBAL__N_125multi_tensor_apply_kernelINS1_18TensorListMetadataILi2EEENS1_27BinaryOpScalarTensorFunctorIfLi2ELi1ELi1EEEJSt4plusIfEPffEEEvT_T0_DpT1_,@function
_ZN2at6native12_GLOBAL__N_125multi_tensor_apply_kernelINS1_18TensorListMetadataILi2EEENS1_27BinaryOpScalarTensorFunctorIfLi2ELi1ELi1EEEJSt4plusIfEPffEEEvT_T0_DpT1_: ; @_ZN2at6native12_GLOBAL__N_125multi_tensor_apply_kernelINS1_18TensorListMetadataILi2EEENS1_27BinaryOpScalarTensorFunctorIfLi2ELi1ELi1EEEJSt4plusIfEPffEEEvT_T0_DpT1_
; %bb.0:
	s_mov_b32 s2, ttmp9
	s_mov_b32 s3, 0
	s_delay_alu instid0(SALU_CYCLE_1)
	s_mul_u64 s[4:5], s[2:3], 3
	s_add_nc_u64 s[6:7], s[0:1], s[2:3]
	s_mov_b32 s15, s3
	s_add_nc_u64 s[4:5], s[6:7], s[4:5]
	s_clause 0x1
	s_load_b32 s10, s[4:5], 0x740
	s_load_u8 s2, s[0:1], ttmp9 offset:0x600
	s_mov_b32 s21, s3
	s_wait_kmcnt 0x0
	s_ashr_i32 s11, s10, 31
	s_lshl_b32 s2, s2, 3
	s_clause 0x3
	s_load_b64 s[16:17], s[0:1], s2 offset:0x0
	s_load_b64 s[18:19], s[0:1], s2 offset:0x200
	;; [unrolled: 1-line block ×3, first 2 shown]
	s_load_b96 s[4:6], s[0:1], 0xc50
	s_lshl_b64 s[8:9], s[10:11], 18
	s_lshl_b64 s[10:11], s[10:11], 16
	s_wait_kmcnt 0x0
	s_add_nc_u64 s[22:23], s[16:17], s[8:9]
	s_and_b32 s14, s18, 15
	s_and_b32 s20, s12, 3
	;; [unrolled: 1-line block ×3, first 2 shown]
	s_or_b64 s[14:15], s[14:15], s[20:21]
	s_delay_alu instid0(SALU_CYCLE_1)
	s_or_b64 s[2:3], s[14:15], s[2:3]
	s_sub_nc_u64 s[14:15], s[12:13], s[10:11]
	s_cmp_eq_u64 s[2:3], 0
	s_mov_b32 s2, -1
	s_cbranch_scc0 .LBB18_5
; %bb.1:
	v_cmp_gt_i64_e64 s2, 0x10000, s[14:15]
	v_dual_mov_b32 v2, 0 :: v_dual_lshlrev_b32 v1, 2, v0
	s_mov_b32 s3, exec_lo
	s_and_b32 s2, s2, exec_lo
	s_cselect_b32 s11, s15, 0
	s_cselect_b32 s10, s14, 0x10000
	s_delay_alu instid0(SALU_CYCLE_1)
	v_cmpx_gt_i64_e64 s[10:11], v[1:2]
	s_cbranch_execz .LBB18_4
; %bb.2:
	s_load_b32 s2, s[0:1], 0xc6c
	v_lshlrev_b32_e32 v3, 4, v0
	v_mov_b32_e32 v1, v2
	s_mov_b32 s12, 0
	s_delay_alu instid0(VALU_DEP_2) | instskip(NEXT) | instid1(VALU_DEP_1)
	v_add_co_u32 v5, s7, s8, v3
	v_add_co_ci_u32_e64 v6, null, s9, 0, s7
	s_delay_alu instid0(VALU_DEP_3)
	v_dual_mov_b32 v4, v1 :: v_dual_mov_b32 v3, v0
	s_wait_kmcnt 0x0
	s_and_b32 s7, s2, 0xffff
	s_wait_alu 0xfffe
	s_lshl_b32 s13, s7, 4
.LBB18_3:                               ; =>This Inner Loop Header: Depth=1
	v_add_co_u32 v7, vcc_lo, s16, v5
	s_wait_alu 0xfffd
	v_add_co_ci_u32_e64 v8, null, s17, v6, vcc_lo
	v_add_co_u32 v3, vcc_lo, v3, s7
	global_load_b32 v1, v2, s[4:5]
	global_load_b128 v[7:10], v[7:8], off
	s_wait_alu 0xfffd
	v_add_co_ci_u32_e64 v4, null, 0, v4, vcc_lo
	v_add_co_u32 v11, vcc_lo, s18, v5
	s_wait_alu 0xfffd
	v_add_co_ci_u32_e64 v12, null, s19, v6, vcc_lo
	s_delay_alu instid0(VALU_DEP_3) | instskip(SKIP_3) | instid1(VALU_DEP_3)
	v_lshlrev_b64_e32 v[13:14], 2, v[3:4]
	v_add_co_u32 v5, vcc_lo, v5, s13
	s_wait_alu 0xfffd
	v_add_co_ci_u32_e64 v6, null, 0, v6, vcc_lo
	v_cmp_le_i64_e64 s2, s[10:11], v[13:14]
	s_or_b32 s12, s2, s12
	s_wait_loadcnt 0x0
	v_fma_f32 v7, s6, v1, v7
	v_fma_f32 v8, s6, v1, v8
	;; [unrolled: 1-line block ×3, first 2 shown]
	v_fmac_f32_e32 v10, s6, v1
	global_store_b128 v[11:12], v[7:10], off
	s_wait_alu 0xfffe
	s_and_not1_b32 exec_lo, exec_lo, s12
	s_cbranch_execnz .LBB18_3
.LBB18_4:
	s_or_b32 exec_lo, exec_lo, s3
	s_mov_b32 s2, 0
.LBB18_5:
	s_delay_alu instid0(SALU_CYCLE_1)
	s_and_not1_b32 vcc_lo, exec_lo, s2
	s_wait_alu 0xfffe
	s_cbranch_vccnz .LBB18_25
; %bb.6:
	v_cmp_lt_i64_e64 s2, s[14:15], 1
	s_and_b32 vcc_lo, exec_lo, s2
	s_wait_alu 0xfffe
	s_cbranch_vccnz .LBB18_25
; %bb.7:
	s_load_b32 s0, s[0:1], 0xc6c
	v_cmp_gt_i64_e64 s1, 0x10000, s[14:15]
	v_dual_mov_b32 v2, 0 :: v_dual_lshlrev_b32 v1, 2, v0
	v_cmp_gt_u64_e64 s2, 0x10000, s[14:15]
	s_mov_b32 s11, 0
	s_and_b32 s1, s1, exec_lo
	v_add_co_u32 v5, s1, s18, v1
	v_add_co_u32 v3, s3, s16, v1
	s_cselect_b32 s13, s15, 0
	s_cselect_b32 s12, s14, 0x10000
	v_add_co_ci_u32_e64 v6, null, s19, 0, s1
	v_add_co_ci_u32_e64 v4, null, s17, 0, s3
	s_wait_kmcnt 0x0
	s_and_b32 s0, s0, 0xffff
	s_and_b32 s1, s2, exec_lo
	s_cselect_b32 s15, s15, 0
	s_cselect_b32 s14, s14, 0x10000
	s_wait_alu 0xfffe
	s_mul_i32 s2, s0, 3
	s_lshl_b32 s3, s0, 3
	v_mad_co_u64_u32 v[9:10], null, s0, 12, v[1:2]
	s_wait_alu 0xfffe
	v_add_co_u32 v15, s3, s3, v1
	v_add_co_u32 v1, s2, s2, v0
	s_wait_alu 0xf1ff
	v_add_co_ci_u32_e64 v11, null, 0, 0, s2
	v_add_co_u32 v14, s2, v0, s0
	s_lshl_b32 s1, s0, 1
	v_add_co_u32 v7, vcc_lo, s16, v9
	v_lshlrev_b32_e32 v22, 2, v14
	v_add_co_ci_u32_e64 v16, null, 0, 0, s3
	s_wait_alu 0xfffd
	v_add_co_ci_u32_e64 v8, null, s17, v10, vcc_lo
	v_add_co_u32 v9, vcc_lo, s18, v9
	s_wait_alu 0xfffe
	v_add_co_u32 v18, s1, s1, v0
	s_wait_alu 0xfffd
	v_add_co_ci_u32_e64 v10, null, s19, v10, vcc_lo
	v_add_co_u32 v12, vcc_lo, s16, v15
	s_wait_alu 0xf1ff
	v_add_co_ci_u32_e64 v19, null, 0, 0, s1
	v_add_co_u32 v20, s1, s16, v22
	s_wait_alu 0xfffd
	v_add_co_ci_u32_e64 v13, null, s17, v16, vcc_lo
	v_add_co_u32 v15, vcc_lo, s18, v15
	s_wait_alu 0xf1ff
	v_add_co_ci_u32_e64 v21, null, s17, 0, s1
	v_add_co_u32 v22, s1, s18, v22
	s_wait_alu 0xfffd
	v_add_co_ci_u32_e64 v16, null, s19, v16, vcc_lo
	v_add_co_ci_u32_e64 v17, null, 0, 0, s2
	s_wait_alu 0xf1ff
	v_add_co_ci_u32_e64 v23, null, s19, 0, s1
	s_lshl_b32 s10, s0, 2
	s_lshl_b32 s7, s0, 4
	s_mov_b64 s[16:17], 0
	s_branch .LBB18_9
.LBB18_8:                               ;   in Loop: Header=BB18_9 Depth=1
	s_wait_alu 0xfffe
	s_or_b32 exec_lo, exec_lo, s0
	v_add_co_u32 v3, vcc_lo, v3, s7
	s_wait_alu 0xfffd
	v_add_co_ci_u32_e64 v4, null, 0, v4, vcc_lo
	v_add_co_u32 v5, vcc_lo, v5, s7
	s_wait_alu 0xfffd
	v_add_co_ci_u32_e64 v6, null, 0, v6, vcc_lo
	;; [unrolled: 3-line block ×5, first 2 shown]
	v_add_co_u32 v15, vcc_lo, v15, s7
	s_add_nc_u64 s[16:17], s[16:17], s[10:11]
	s_wait_alu 0xfffd
	v_add_co_ci_u32_e64 v16, null, 0, v16, vcc_lo
	v_add_co_u32 v20, vcc_lo, v20, s7
	s_wait_alu 0xfffe
	v_cmp_ge_i64_e64 s0, s[16:17], s[12:13]
	s_wait_alu 0xfffd
	v_add_co_ci_u32_e64 v21, null, 0, v21, vcc_lo
	v_add_co_u32 v22, vcc_lo, v22, s7
	s_wait_alu 0xfffd
	v_add_co_ci_u32_e64 v23, null, 0, v23, vcc_lo
	s_and_b32 vcc_lo, exec_lo, s0
	s_wait_alu 0xfffe
	s_cbranch_vccnz .LBB18_25
.LBB18_9:                               ; =>This Inner Loop Header: Depth=1
	s_wait_alu 0xfffe
	v_add_co_u32 v24, s0, v0, s16
	s_wait_alu 0xf1ff
	v_add_co_ci_u32_e64 v25, null, 0, s17, s0
	s_delay_alu instid0(VALU_DEP_1)
	v_cmp_gt_u64_e32 vcc_lo, s[14:15], v[24:25]
	v_mov_b32_e32 v25, 0
	s_and_saveexec_b32 s1, vcc_lo
	s_cbranch_execz .LBB18_11
; %bb.10:                               ;   in Loop: Header=BB18_9 Depth=1
	v_add_co_u32 v24, s0, v3, s8
	s_wait_alu 0xf1ff
	v_add_co_ci_u32_e64 v25, null, s9, v4, s0
	global_load_b32 v25, v[24:25], off
.LBB18_11:                              ;   in Loop: Header=BB18_9 Depth=1
	s_wait_alu 0xfffe
	s_or_b32 exec_lo, exec_lo, s1
	v_add_co_u32 v26, s0, v14, s16
	s_wait_alu 0xf1ff
	v_add_co_ci_u32_e64 v27, null, s17, v17, s0
	v_mov_b32_e32 v24, 0
	s_delay_alu instid0(VALU_DEP_2)
	v_cmp_gt_u64_e64 s0, s[14:15], v[26:27]
	v_mov_b32_e32 v26, 0
	s_and_saveexec_b32 s2, s0
	s_cbranch_execz .LBB18_13
; %bb.12:                               ;   in Loop: Header=BB18_9 Depth=1
	v_add_co_u32 v26, s1, v20, s8
	s_wait_alu 0xf1ff
	v_add_co_ci_u32_e64 v27, null, s9, v21, s1
	global_load_b32 v26, v[26:27], off
.LBB18_13:                              ;   in Loop: Header=BB18_9 Depth=1
	s_wait_alu 0xfffe
	s_or_b32 exec_lo, exec_lo, s2
	v_add_co_u32 v27, s1, v18, s16
	s_wait_alu 0xf1ff
	v_add_co_ci_u32_e64 v28, null, s17, v19, s1
	s_delay_alu instid0(VALU_DEP_1)
	v_cmp_gt_u64_e64 s1, s[14:15], v[27:28]
	s_and_saveexec_b32 s3, s1
	s_cbranch_execz .LBB18_15
; %bb.14:                               ;   in Loop: Header=BB18_9 Depth=1
	v_add_co_u32 v27, s2, v12, s8
	s_wait_alu 0xf1ff
	v_add_co_ci_u32_e64 v28, null, s9, v13, s2
	global_load_b32 v24, v[27:28], off
.LBB18_15:                              ;   in Loop: Header=BB18_9 Depth=1
	s_wait_alu 0xfffe
	s_or_b32 exec_lo, exec_lo, s3
	v_add_co_u32 v27, s2, v1, s16
	s_wait_alu 0xf1ff
	v_add_co_ci_u32_e64 v28, null, s17, v11, s2
	s_delay_alu instid0(VALU_DEP_1)
	v_cmp_gt_u64_e64 s2, s[14:15], v[27:28]
	v_mov_b32_e32 v27, 0
	s_and_saveexec_b32 s18, s2
	s_cbranch_execz .LBB18_17
; %bb.16:                               ;   in Loop: Header=BB18_9 Depth=1
	v_add_co_u32 v27, s3, v7, s8
	s_wait_alu 0xf1ff
	v_add_co_ci_u32_e64 v28, null, s9, v8, s3
	global_load_b32 v27, v[27:28], off
.LBB18_17:                              ;   in Loop: Header=BB18_9 Depth=1
	s_wait_alu 0xfffe
	s_or_b32 exec_lo, exec_lo, s18
	global_load_b32 v28, v2, s[4:5]
	s_wait_loadcnt 0x0
	v_mul_f32_e32 v28, s6, v28
	s_and_saveexec_b32 s3, vcc_lo
	s_cbranch_execnz .LBB18_21
; %bb.18:                               ;   in Loop: Header=BB18_9 Depth=1
	s_wait_alu 0xfffe
	s_or_b32 exec_lo, exec_lo, s3
	s_and_saveexec_b32 s3, s0
	s_cbranch_execnz .LBB18_22
.LBB18_19:                              ;   in Loop: Header=BB18_9 Depth=1
	s_wait_alu 0xfffe
	s_or_b32 exec_lo, exec_lo, s3
	s_and_saveexec_b32 s0, s1
	s_cbranch_execnz .LBB18_23
.LBB18_20:                              ;   in Loop: Header=BB18_9 Depth=1
	s_wait_alu 0xfffe
	s_or_b32 exec_lo, exec_lo, s0
	s_and_saveexec_b32 s0, s2
	s_cbranch_execz .LBB18_8
	s_branch .LBB18_24
.LBB18_21:                              ;   in Loop: Header=BB18_9 Depth=1
	v_add_co_u32 v29, vcc_lo, v5, s8
	s_wait_alu 0xfffd
	v_add_co_ci_u32_e64 v30, null, s9, v6, vcc_lo
	v_add_f32_e32 v25, v25, v28
	global_store_b32 v[29:30], v25, off
	s_wait_alu 0xfffe
	s_or_b32 exec_lo, exec_lo, s3
	s_and_saveexec_b32 s3, s0
	s_cbranch_execz .LBB18_19
.LBB18_22:                              ;   in Loop: Header=BB18_9 Depth=1
	v_add_co_u32 v25, vcc_lo, v22, s8
	v_add_f32_e32 v29, v26, v28
	s_wait_alu 0xfffd
	v_add_co_ci_u32_e64 v26, null, s9, v23, vcc_lo
	global_store_b32 v[25:26], v29, off
	s_wait_alu 0xfffe
	s_or_b32 exec_lo, exec_lo, s3
	s_and_saveexec_b32 s0, s1
	s_cbranch_execz .LBB18_20
.LBB18_23:                              ;   in Loop: Header=BB18_9 Depth=1
	v_add_f32_e32 v26, v24, v28
	v_add_co_u32 v24, vcc_lo, v15, s8
	s_wait_alu 0xfffd
	v_add_co_ci_u32_e64 v25, null, s9, v16, vcc_lo
	global_store_b32 v[24:25], v26, off
	s_wait_alu 0xfffe
	s_or_b32 exec_lo, exec_lo, s0
	s_and_saveexec_b32 s0, s2
	s_cbranch_execz .LBB18_8
.LBB18_24:                              ;   in Loop: Header=BB18_9 Depth=1
	v_add_co_u32 v24, vcc_lo, v9, s8
	v_add_f32_e32 v26, v27, v28
	s_wait_alu 0xfffd
	v_add_co_ci_u32_e64 v25, null, s9, v10, vcc_lo
	global_store_b32 v[24:25], v26, off
	s_branch .LBB18_8
.LBB18_25:
	s_endpgm
	.section	.rodata,"a",@progbits
	.p2align	6, 0x0
	.amdhsa_kernel _ZN2at6native12_GLOBAL__N_125multi_tensor_apply_kernelINS1_18TensorListMetadataILi2EEENS1_27BinaryOpScalarTensorFunctorIfLi2ELi1ELi1EEEJSt4plusIfEPffEEEvT_T0_DpT1_
		.amdhsa_group_segment_fixed_size 0
		.amdhsa_private_segment_fixed_size 0
		.amdhsa_kernarg_size 3424
		.amdhsa_user_sgpr_count 2
		.amdhsa_user_sgpr_dispatch_ptr 0
		.amdhsa_user_sgpr_queue_ptr 0
		.amdhsa_user_sgpr_kernarg_segment_ptr 1
		.amdhsa_user_sgpr_dispatch_id 0
		.amdhsa_user_sgpr_private_segment_size 0
		.amdhsa_wavefront_size32 1
		.amdhsa_uses_dynamic_stack 0
		.amdhsa_enable_private_segment 0
		.amdhsa_system_sgpr_workgroup_id_x 1
		.amdhsa_system_sgpr_workgroup_id_y 0
		.amdhsa_system_sgpr_workgroup_id_z 0
		.amdhsa_system_sgpr_workgroup_info 0
		.amdhsa_system_vgpr_workitem_id 0
		.amdhsa_next_free_vgpr 31
		.amdhsa_next_free_sgpr 24
		.amdhsa_reserve_vcc 1
		.amdhsa_float_round_mode_32 0
		.amdhsa_float_round_mode_16_64 0
		.amdhsa_float_denorm_mode_32 3
		.amdhsa_float_denorm_mode_16_64 3
		.amdhsa_fp16_overflow 0
		.amdhsa_workgroup_processor_mode 1
		.amdhsa_memory_ordered 1
		.amdhsa_forward_progress 1
		.amdhsa_inst_pref_size 14
		.amdhsa_round_robin_scheduling 0
		.amdhsa_exception_fp_ieee_invalid_op 0
		.amdhsa_exception_fp_denorm_src 0
		.amdhsa_exception_fp_ieee_div_zero 0
		.amdhsa_exception_fp_ieee_overflow 0
		.amdhsa_exception_fp_ieee_underflow 0
		.amdhsa_exception_fp_ieee_inexact 0
		.amdhsa_exception_int_div_zero 0
	.end_amdhsa_kernel
	.section	.text._ZN2at6native12_GLOBAL__N_125multi_tensor_apply_kernelINS1_18TensorListMetadataILi2EEENS1_27BinaryOpScalarTensorFunctorIfLi2ELi1ELi1EEEJSt4plusIfEPffEEEvT_T0_DpT1_,"axG",@progbits,_ZN2at6native12_GLOBAL__N_125multi_tensor_apply_kernelINS1_18TensorListMetadataILi2EEENS1_27BinaryOpScalarTensorFunctorIfLi2ELi1ELi1EEEJSt4plusIfEPffEEEvT_T0_DpT1_,comdat
.Lfunc_end18:
	.size	_ZN2at6native12_GLOBAL__N_125multi_tensor_apply_kernelINS1_18TensorListMetadataILi2EEENS1_27BinaryOpScalarTensorFunctorIfLi2ELi1ELi1EEEJSt4plusIfEPffEEEvT_T0_DpT1_, .Lfunc_end18-_ZN2at6native12_GLOBAL__N_125multi_tensor_apply_kernelINS1_18TensorListMetadataILi2EEENS1_27BinaryOpScalarTensorFunctorIfLi2ELi1ELi1EEEJSt4plusIfEPffEEEvT_T0_DpT1_
                                        ; -- End function
	.set _ZN2at6native12_GLOBAL__N_125multi_tensor_apply_kernelINS1_18TensorListMetadataILi2EEENS1_27BinaryOpScalarTensorFunctorIfLi2ELi1ELi1EEEJSt4plusIfEPffEEEvT_T0_DpT1_.num_vgpr, 31
	.set _ZN2at6native12_GLOBAL__N_125multi_tensor_apply_kernelINS1_18TensorListMetadataILi2EEENS1_27BinaryOpScalarTensorFunctorIfLi2ELi1ELi1EEEJSt4plusIfEPffEEEvT_T0_DpT1_.num_agpr, 0
	.set _ZN2at6native12_GLOBAL__N_125multi_tensor_apply_kernelINS1_18TensorListMetadataILi2EEENS1_27BinaryOpScalarTensorFunctorIfLi2ELi1ELi1EEEJSt4plusIfEPffEEEvT_T0_DpT1_.numbered_sgpr, 24
	.set _ZN2at6native12_GLOBAL__N_125multi_tensor_apply_kernelINS1_18TensorListMetadataILi2EEENS1_27BinaryOpScalarTensorFunctorIfLi2ELi1ELi1EEEJSt4plusIfEPffEEEvT_T0_DpT1_.num_named_barrier, 0
	.set _ZN2at6native12_GLOBAL__N_125multi_tensor_apply_kernelINS1_18TensorListMetadataILi2EEENS1_27BinaryOpScalarTensorFunctorIfLi2ELi1ELi1EEEJSt4plusIfEPffEEEvT_T0_DpT1_.private_seg_size, 0
	.set _ZN2at6native12_GLOBAL__N_125multi_tensor_apply_kernelINS1_18TensorListMetadataILi2EEENS1_27BinaryOpScalarTensorFunctorIfLi2ELi1ELi1EEEJSt4plusIfEPffEEEvT_T0_DpT1_.uses_vcc, 1
	.set _ZN2at6native12_GLOBAL__N_125multi_tensor_apply_kernelINS1_18TensorListMetadataILi2EEENS1_27BinaryOpScalarTensorFunctorIfLi2ELi1ELi1EEEJSt4plusIfEPffEEEvT_T0_DpT1_.uses_flat_scratch, 0
	.set _ZN2at6native12_GLOBAL__N_125multi_tensor_apply_kernelINS1_18TensorListMetadataILi2EEENS1_27BinaryOpScalarTensorFunctorIfLi2ELi1ELi1EEEJSt4plusIfEPffEEEvT_T0_DpT1_.has_dyn_sized_stack, 0
	.set _ZN2at6native12_GLOBAL__N_125multi_tensor_apply_kernelINS1_18TensorListMetadataILi2EEENS1_27BinaryOpScalarTensorFunctorIfLi2ELi1ELi1EEEJSt4plusIfEPffEEEvT_T0_DpT1_.has_recursion, 0
	.set _ZN2at6native12_GLOBAL__N_125multi_tensor_apply_kernelINS1_18TensorListMetadataILi2EEENS1_27BinaryOpScalarTensorFunctorIfLi2ELi1ELi1EEEJSt4plusIfEPffEEEvT_T0_DpT1_.has_indirect_call, 0
	.section	.AMDGPU.csdata,"",@progbits
; Kernel info:
; codeLenInByte = 1684
; TotalNumSgprs: 26
; NumVgprs: 31
; ScratchSize: 0
; MemoryBound: 0
; FloatMode: 240
; IeeeMode: 1
; LDSByteSize: 0 bytes/workgroup (compile time only)
; SGPRBlocks: 0
; VGPRBlocks: 3
; NumSGPRsForWavesPerEU: 26
; NumVGPRsForWavesPerEU: 31
; Occupancy: 16
; WaveLimiterHint : 0
; COMPUTE_PGM_RSRC2:SCRATCH_EN: 0
; COMPUTE_PGM_RSRC2:USER_SGPR: 2
; COMPUTE_PGM_RSRC2:TRAP_HANDLER: 0
; COMPUTE_PGM_RSRC2:TGID_X_EN: 1
; COMPUTE_PGM_RSRC2:TGID_Y_EN: 0
; COMPUTE_PGM_RSRC2:TGID_Z_EN: 0
; COMPUTE_PGM_RSRC2:TIDIG_COMP_CNT: 0
	.section	.text._ZN2at6native12_GLOBAL__N_125multi_tensor_apply_kernelINS1_18TensorListMetadataILi2EEENS1_27BinaryOpScalarTensorFunctorIN3c107complexIdEELi2ELi1ELi1EEEJSt4plusIS8_EPS8_S8_EEEvT_T0_DpT1_,"axG",@progbits,_ZN2at6native12_GLOBAL__N_125multi_tensor_apply_kernelINS1_18TensorListMetadataILi2EEENS1_27BinaryOpScalarTensorFunctorIN3c107complexIdEELi2ELi1ELi1EEEJSt4plusIS8_EPS8_S8_EEEvT_T0_DpT1_,comdat
	.globl	_ZN2at6native12_GLOBAL__N_125multi_tensor_apply_kernelINS1_18TensorListMetadataILi2EEENS1_27BinaryOpScalarTensorFunctorIN3c107complexIdEELi2ELi1ELi1EEEJSt4plusIS8_EPS8_S8_EEEvT_T0_DpT1_ ; -- Begin function _ZN2at6native12_GLOBAL__N_125multi_tensor_apply_kernelINS1_18TensorListMetadataILi2EEENS1_27BinaryOpScalarTensorFunctorIN3c107complexIdEELi2ELi1ELi1EEEJSt4plusIS8_EPS8_S8_EEEvT_T0_DpT1_
	.p2align	8
	.type	_ZN2at6native12_GLOBAL__N_125multi_tensor_apply_kernelINS1_18TensorListMetadataILi2EEENS1_27BinaryOpScalarTensorFunctorIN3c107complexIdEELi2ELi1ELi1EEEJSt4plusIS8_EPS8_S8_EEEvT_T0_DpT1_,@function
_ZN2at6native12_GLOBAL__N_125multi_tensor_apply_kernelINS1_18TensorListMetadataILi2EEENS1_27BinaryOpScalarTensorFunctorIN3c107complexIdEELi2ELi1ELi1EEEJSt4plusIS8_EPS8_S8_EEEvT_T0_DpT1_: ; @_ZN2at6native12_GLOBAL__N_125multi_tensor_apply_kernelINS1_18TensorListMetadataILi2EEENS1_27BinaryOpScalarTensorFunctorIN3c107complexIdEELi2ELi1ELi1EEEJSt4plusIS8_EPS8_S8_EEEvT_T0_DpT1_
; %bb.0:
	s_mov_b32 s2, ttmp9
	s_mov_b32 s3, 0
	s_delay_alu instid0(SALU_CYCLE_1)
	s_mul_u64 s[4:5], s[2:3], 3
	s_add_nc_u64 s[6:7], s[0:1], s[2:3]
	s_mov_b32 s21, s3
	s_add_nc_u64 s[4:5], s[6:7], s[4:5]
	s_clause 0x1
	s_load_b32 s14, s[4:5], 0x740
	s_load_u8 s2, s[0:1], ttmp9 offset:0x600
	s_wait_kmcnt 0x0
	s_ashr_i32 s15, s14, 31
	s_lshl_b32 s2, s2, 3
	s_clause 0x4
	s_load_b64 s[10:11], s[0:1], s2 offset:0x0
	s_load_b64 s[12:13], s[0:1], s2 offset:0x200
	;; [unrolled: 1-line block ×3, first 2 shown]
	s_load_b128 s[4:7], s[0:1], 0xc60
	s_load_b64 s[8:9], s[0:1], 0xc50
	s_lshl_b64 s[18:19], s[14:15], 20
	s_lshl_b64 s[14:15], s[14:15], 16
	s_wait_kmcnt 0x0
	s_add_nc_u64 s[10:11], s[10:11], s[18:19]
	s_add_nc_u64 s[12:13], s[12:13], s[18:19]
	s_and_b32 s18, s16, 3
	s_and_b32 s20, s12, 63
	s_mov_b32 s19, s3
	s_and_b32 s2, s10, 63
	s_or_b64 s[18:19], s[20:21], s[18:19]
	s_delay_alu instid0(SALU_CYCLE_1)
	s_or_b64 s[18:19], s[18:19], s[2:3]
	s_sub_nc_u64 s[2:3], s[16:17], s[14:15]
	s_cmp_eq_u64 s[18:19], 0
	s_mov_b32 s14, -1
	s_cbranch_scc0 .LBB19_5
; %bb.1:
	v_cmp_gt_i64_e64 s14, 0x10000, s[2:3]
	v_dual_mov_b32 v2, 0 :: v_dual_lshlrev_b32 v1, 2, v0
	s_mov_b32 s22, exec_lo
	s_and_b32 s14, s14, exec_lo
	s_cselect_b32 s15, s3, 0
	s_cselect_b32 s14, s2, 0x10000
	s_delay_alu instid0(SALU_CYCLE_1)
	v_cmpx_gt_i64_e64 s[14:15], v[1:2]
	s_cbranch_execz .LBB19_4
; %bb.2:
	s_load_b32 s16, s[0:1], 0xc7c
	v_mov_b32_e32 v1, v2
	v_lshlrev_b32_e32 v5, 6, v0
	s_mov_b32 s17, 0
	s_mov_b64 s[18:19], s[10:11]
	s_mov_b32 s24, s17
	v_dual_mov_b32 v4, v1 :: v_dual_mov_b32 v3, v0
	s_mov_b64 s[20:21], s[12:13]
	s_wait_kmcnt 0x0
	s_and_b32 s23, s16, 0xffff
	s_delay_alu instid0(SALU_CYCLE_1)
	s_lshl_b32 s16, s23, 6
.LBB19_3:                               ; =>This Inner Loop Header: Depth=1
	global_load_b128 v[6:9], v2, s[8:9]
	v_add_co_u32 v22, s25, s18, v5
	s_wait_alu 0xf1ff
	v_add_co_ci_u32_e64 v23, null, s19, 0, s25
	v_add_co_u32 v3, vcc_lo, v3, s23
	s_clause 0x3
	global_load_b128 v[10:13], v[22:23], off
	global_load_b128 v[14:17], v[22:23], off offset:16
	global_load_b128 v[18:21], v[22:23], off offset:32
	;; [unrolled: 1-line block ×3, first 2 shown]
	s_wait_alu 0xfffd
	v_add_co_ci_u32_e64 v4, null, 0, v4, vcc_lo
	s_add_nc_u64 s[18:19], s[18:19], s[16:17]
	s_wait_loadcnt 0x4
	v_mul_f64_e32 v[26:27], s[6:7], v[8:9]
	v_mul_f64_e32 v[8:9], s[4:5], v[8:9]
	s_delay_alu instid0(VALU_DEP_2) | instskip(NEXT) | instid1(VALU_DEP_2)
	v_fma_f64 v[26:27], s[4:5], v[6:7], -v[26:27]
	v_fma_f64 v[28:29], s[6:7], v[6:7], v[8:9]
	s_wait_loadcnt 0x3
	s_delay_alu instid0(VALU_DEP_2) | instskip(NEXT) | instid1(VALU_DEP_2)
	v_add_f64_e32 v[6:7], v[10:11], v[26:27]
	v_add_f64_e32 v[8:9], v[12:13], v[28:29]
	s_wait_loadcnt 0x2
	v_add_f64_e32 v[10:11], v[14:15], v[26:27]
	v_add_f64_e32 v[12:13], v[16:17], v[28:29]
	s_wait_loadcnt 0x1
	;; [unrolled: 3-line block ×3, first 2 shown]
	v_add_f64_e32 v[18:19], v[22:23], v[26:27]
	v_add_f64_e32 v[20:21], v[24:25], v[28:29]
	v_lshlrev_b64_e32 v[22:23], 2, v[3:4]
	v_add_co_u32 v24, s25, s20, v5
	s_wait_alu 0xf1ff
	v_add_co_ci_u32_e64 v25, null, s21, 0, s25
	s_add_nc_u64 s[20:21], s[20:21], s[16:17]
	v_cmp_le_i64_e32 vcc_lo, s[14:15], v[22:23]
	s_clause 0x3
	global_store_b128 v[24:25], v[6:9], off
	global_store_b128 v[24:25], v[10:13], off offset:16
	global_store_b128 v[24:25], v[14:17], off offset:32
	;; [unrolled: 1-line block ×3, first 2 shown]
	s_or_b32 s24, vcc_lo, s24
	s_wait_alu 0xfffe
	s_and_not1_b32 exec_lo, exec_lo, s24
	s_cbranch_execnz .LBB19_3
.LBB19_4:
	s_or_b32 exec_lo, exec_lo, s22
	s_mov_b32 s14, 0
.LBB19_5:
	s_wait_alu 0xfffe
	s_and_not1_b32 vcc_lo, exec_lo, s14
	s_wait_alu 0xfffe
	s_cbranch_vccnz .LBB19_25
; %bb.6:
	v_cmp_lt_i64_e64 s14, s[2:3], 1
	s_and_b32 vcc_lo, exec_lo, s14
	s_wait_alu 0xfffe
	s_cbranch_vccnz .LBB19_25
; %bb.7:
	s_load_b32 s0, s[0:1], 0xc7c
	v_cmp_gt_i64_e64 s1, 0x10000, s[2:3]
	v_cmp_gt_u64_e64 s14, 0x10000, s[2:3]
	v_mov_b32_e32 v29, 0
	s_mov_b32 s15, 0
	s_mov_b64 s[20:21], 0
	s_and_b32 s1, s1, exec_lo
	s_cselect_b32 s17, s3, 0
	s_cselect_b32 s16, s2, 0x10000
	s_wait_kmcnt 0x0
	s_and_b32 s22, s0, 0xffff
	s_and_b32 s0, s14, exec_lo
	s_cselect_b32 s19, s3, 0
	s_cselect_b32 s18, s2, 0x10000
	s_wait_alu 0xfffe
	s_lshl_b32 s23, s22, 1
	s_mul_i32 s24, s22, 3
	s_lshl_b32 s14, s22, 2
	s_branch .LBB19_9
.LBB19_8:                               ;   in Loop: Header=BB19_9 Depth=1
	s_wait_alu 0xfffe
	s_or_b32 exec_lo, exec_lo, s0
	s_add_nc_u64 s[20:21], s[20:21], s[14:15]
	s_wait_alu 0xfffe
	v_cmp_ge_i64_e64 s0, s[20:21], s[16:17]
	s_and_b32 vcc_lo, exec_lo, s0
	s_wait_alu 0xfffe
	s_cbranch_vccnz .LBB19_25
.LBB19_9:                               ; =>This Inner Loop Header: Depth=1
	v_add_co_u32 v17, s0, s20, v0
	s_wait_alu 0xf1ff
	v_add_co_ci_u32_e64 v18, null, s21, 0, s0
	v_mov_b32_e32 v3, 0
	v_dual_mov_b32 v4, 0 :: v_dual_mov_b32 v7, 0
	s_delay_alu instid0(VALU_DEP_3)
	v_cmp_gt_u64_e32 vcc_lo, s[18:19], v[17:18]
	v_dual_mov_b32 v5, 0 :: v_dual_mov_b32 v8, 0
	v_mov_b32_e32 v6, 0
	s_and_saveexec_b32 s1, vcc_lo
	s_cbranch_execz .LBB19_11
; %bb.10:                               ;   in Loop: Header=BB19_9 Depth=1
	v_lshlrev_b64_e32 v[1:2], 4, v[17:18]
	s_delay_alu instid0(VALU_DEP_1) | instskip(SKIP_1) | instid1(VALU_DEP_2)
	v_add_co_u32 v1, s0, s10, v1
	s_wait_alu 0xf1ff
	v_add_co_ci_u32_e64 v2, null, s11, v2, s0
	global_load_b128 v[5:8], v[1:2], off
.LBB19_11:                              ;   in Loop: Header=BB19_9 Depth=1
	s_wait_alu 0xfffe
	s_or_b32 exec_lo, exec_lo, s1
	v_add_co_u32 v19, s0, v17, s22
	s_wait_alu 0xf1ff
	v_add_co_ci_u32_e64 v20, null, 0, v18, s0
	v_mov_b32_e32 v1, 0
	v_mov_b32_e32 v2, 0
	s_delay_alu instid0(VALU_DEP_3)
	v_cmp_gt_u64_e64 s0, s[18:19], v[19:20]
	s_and_saveexec_b32 s2, s0
	s_cbranch_execz .LBB19_13
; %bb.12:                               ;   in Loop: Header=BB19_9 Depth=1
	v_lshlrev_b64_e32 v[1:2], 4, v[19:20]
	s_delay_alu instid0(VALU_DEP_1) | instskip(SKIP_1) | instid1(VALU_DEP_2)
	v_add_co_u32 v1, s1, s10, v1
	s_wait_alu 0xf1ff
	v_add_co_ci_u32_e64 v2, null, s11, v2, s1
	global_load_b128 v[1:4], v[1:2], off
.LBB19_13:                              ;   in Loop: Header=BB19_9 Depth=1
	s_wait_alu 0xfffe
	s_or_b32 exec_lo, exec_lo, s2
	v_add_co_u32 v21, s1, v17, s23
	s_wait_alu 0xf1ff
	v_add_co_ci_u32_e64 v22, null, 0, v18, s1
	v_mov_b32_e32 v11, 0
	v_dual_mov_b32 v12, 0 :: v_dual_mov_b32 v15, 0
	s_delay_alu instid0(VALU_DEP_3)
	v_cmp_gt_u64_e64 s1, s[18:19], v[21:22]
	v_dual_mov_b32 v13, 0 :: v_dual_mov_b32 v16, 0
	v_mov_b32_e32 v14, 0
	s_and_saveexec_b32 s3, s1
	s_cbranch_execz .LBB19_15
; %bb.14:                               ;   in Loop: Header=BB19_9 Depth=1
	v_lshlrev_b64_e32 v[9:10], 4, v[21:22]
	s_delay_alu instid0(VALU_DEP_1) | instskip(SKIP_1) | instid1(VALU_DEP_2)
	v_add_co_u32 v9, s2, s10, v9
	s_wait_alu 0xf1ff
	v_add_co_ci_u32_e64 v10, null, s11, v10, s2
	global_load_b128 v[13:16], v[9:10], off
.LBB19_15:                              ;   in Loop: Header=BB19_9 Depth=1
	s_wait_alu 0xfffe
	s_or_b32 exec_lo, exec_lo, s3
	v_add_co_u32 v23, s2, v17, s24
	s_wait_alu 0xf1ff
	v_add_co_ci_u32_e64 v24, null, 0, v18, s2
	v_mov_b32_e32 v9, 0
	v_mov_b32_e32 v10, 0
	s_delay_alu instid0(VALU_DEP_3)
	v_cmp_gt_u64_e64 s2, s[18:19], v[23:24]
	s_and_saveexec_b32 s25, s2
	s_cbranch_execz .LBB19_17
; %bb.16:                               ;   in Loop: Header=BB19_9 Depth=1
	v_lshlrev_b64_e32 v[9:10], 4, v[23:24]
	s_delay_alu instid0(VALU_DEP_1) | instskip(SKIP_1) | instid1(VALU_DEP_2)
	v_add_co_u32 v9, s3, s10, v9
	s_wait_alu 0xf1ff
	v_add_co_ci_u32_e64 v10, null, s11, v10, s3
	global_load_b128 v[9:12], v[9:10], off
.LBB19_17:                              ;   in Loop: Header=BB19_9 Depth=1
	s_wait_alu 0xfffe
	s_or_b32 exec_lo, exec_lo, s25
	global_load_b128 v[30:33], v29, s[8:9]
	s_wait_loadcnt 0x0
	v_mul_f64_e32 v[25:26], s[6:7], v[32:33]
	v_mul_f64_e32 v[27:28], s[4:5], v[32:33]
	s_delay_alu instid0(VALU_DEP_2) | instskip(NEXT) | instid1(VALU_DEP_2)
	v_fma_f64 v[25:26], s[4:5], v[30:31], -v[25:26]
	v_fma_f64 v[27:28], s[6:7], v[30:31], v[27:28]
	s_and_saveexec_b32 s3, vcc_lo
	s_cbranch_execnz .LBB19_21
; %bb.18:                               ;   in Loop: Header=BB19_9 Depth=1
	s_wait_alu 0xfffe
	s_or_b32 exec_lo, exec_lo, s3
	s_and_saveexec_b32 s3, s0
	s_cbranch_execnz .LBB19_22
.LBB19_19:                              ;   in Loop: Header=BB19_9 Depth=1
	s_wait_alu 0xfffe
	s_or_b32 exec_lo, exec_lo, s3
	s_and_saveexec_b32 s0, s1
	s_cbranch_execnz .LBB19_23
.LBB19_20:                              ;   in Loop: Header=BB19_9 Depth=1
	s_wait_alu 0xfffe
	s_or_b32 exec_lo, exec_lo, s0
	s_and_saveexec_b32 s0, s2
	s_cbranch_execz .LBB19_8
	s_branch .LBB19_24
.LBB19_21:                              ;   in Loop: Header=BB19_9 Depth=1
	s_delay_alu instid0(VALU_DEP_1) | instskip(NEXT) | instid1(VALU_DEP_3)
	v_add_f64_e32 v[7:8], v[7:8], v[27:28]
	v_add_f64_e32 v[5:6], v[5:6], v[25:26]
	v_lshlrev_b64_e32 v[17:18], 4, v[17:18]
	s_delay_alu instid0(VALU_DEP_1) | instskip(SKIP_1) | instid1(VALU_DEP_2)
	v_add_co_u32 v17, vcc_lo, s12, v17
	s_wait_alu 0xfffd
	v_add_co_ci_u32_e64 v18, null, s13, v18, vcc_lo
	global_store_b128 v[17:18], v[5:8], off
	s_wait_alu 0xfffe
	s_or_b32 exec_lo, exec_lo, s3
	s_and_saveexec_b32 s3, s0
	s_cbranch_execz .LBB19_19
.LBB19_22:                              ;   in Loop: Header=BB19_9 Depth=1
	s_delay_alu instid0(VALU_DEP_2) | instskip(NEXT) | instid1(VALU_DEP_2)
	v_add_f64_e32 v[1:2], v[1:2], v[25:26]
	v_add_f64_e32 v[3:4], v[3:4], v[27:28]
	v_lshlrev_b64_e32 v[5:6], 4, v[19:20]
	s_delay_alu instid0(VALU_DEP_1) | instskip(SKIP_1) | instid1(VALU_DEP_2)
	v_add_co_u32 v5, vcc_lo, s12, v5
	s_wait_alu 0xfffd
	v_add_co_ci_u32_e64 v6, null, s13, v6, vcc_lo
	global_store_b128 v[5:6], v[1:4], off
	s_wait_alu 0xfffe
	s_or_b32 exec_lo, exec_lo, s3
	s_and_saveexec_b32 s0, s1
	s_cbranch_execz .LBB19_20
.LBB19_23:                              ;   in Loop: Header=BB19_9 Depth=1
	s_delay_alu instid0(VALU_DEP_2) | instskip(NEXT) | instid1(VALU_DEP_2)
	v_add_f64_e32 v[1:2], v[13:14], v[25:26]
	v_add_f64_e32 v[3:4], v[15:16], v[27:28]
	v_lshlrev_b64_e32 v[5:6], 4, v[21:22]
	s_delay_alu instid0(VALU_DEP_1) | instskip(SKIP_1) | instid1(VALU_DEP_2)
	v_add_co_u32 v5, vcc_lo, s12, v5
	s_wait_alu 0xfffd
	v_add_co_ci_u32_e64 v6, null, s13, v6, vcc_lo
	global_store_b128 v[5:6], v[1:4], off
	s_wait_alu 0xfffe
	s_or_b32 exec_lo, exec_lo, s0
	s_and_saveexec_b32 s0, s2
	s_cbranch_execz .LBB19_8
.LBB19_24:                              ;   in Loop: Header=BB19_9 Depth=1
	s_delay_alu instid0(VALU_DEP_2) | instskip(NEXT) | instid1(VALU_DEP_2)
	v_add_f64_e32 v[1:2], v[9:10], v[25:26]
	v_add_f64_e32 v[3:4], v[11:12], v[27:28]
	v_lshlrev_b64_e32 v[5:6], 4, v[23:24]
	s_delay_alu instid0(VALU_DEP_1) | instskip(SKIP_1) | instid1(VALU_DEP_2)
	v_add_co_u32 v5, vcc_lo, s12, v5
	s_wait_alu 0xfffd
	v_add_co_ci_u32_e64 v6, null, s13, v6, vcc_lo
	global_store_b128 v[5:6], v[1:4], off
	s_branch .LBB19_8
.LBB19_25:
	s_endpgm
	.section	.rodata,"a",@progbits
	.p2align	6, 0x0
	.amdhsa_kernel _ZN2at6native12_GLOBAL__N_125multi_tensor_apply_kernelINS1_18TensorListMetadataILi2EEENS1_27BinaryOpScalarTensorFunctorIN3c107complexIdEELi2ELi1ELi1EEEJSt4plusIS8_EPS8_S8_EEEvT_T0_DpT1_
		.amdhsa_group_segment_fixed_size 0
		.amdhsa_private_segment_fixed_size 0
		.amdhsa_kernarg_size 3440
		.amdhsa_user_sgpr_count 2
		.amdhsa_user_sgpr_dispatch_ptr 0
		.amdhsa_user_sgpr_queue_ptr 0
		.amdhsa_user_sgpr_kernarg_segment_ptr 1
		.amdhsa_user_sgpr_dispatch_id 0
		.amdhsa_user_sgpr_private_segment_size 0
		.amdhsa_wavefront_size32 1
		.amdhsa_uses_dynamic_stack 0
		.amdhsa_enable_private_segment 0
		.amdhsa_system_sgpr_workgroup_id_x 1
		.amdhsa_system_sgpr_workgroup_id_y 0
		.amdhsa_system_sgpr_workgroup_id_z 0
		.amdhsa_system_sgpr_workgroup_info 0
		.amdhsa_system_vgpr_workitem_id 0
		.amdhsa_next_free_vgpr 34
		.amdhsa_next_free_sgpr 26
		.amdhsa_reserve_vcc 1
		.amdhsa_float_round_mode_32 0
		.amdhsa_float_round_mode_16_64 0
		.amdhsa_float_denorm_mode_32 3
		.amdhsa_float_denorm_mode_16_64 3
		.amdhsa_fp16_overflow 0
		.amdhsa_workgroup_processor_mode 1
		.amdhsa_memory_ordered 1
		.amdhsa_forward_progress 1
		.amdhsa_inst_pref_size 13
		.amdhsa_round_robin_scheduling 0
		.amdhsa_exception_fp_ieee_invalid_op 0
		.amdhsa_exception_fp_denorm_src 0
		.amdhsa_exception_fp_ieee_div_zero 0
		.amdhsa_exception_fp_ieee_overflow 0
		.amdhsa_exception_fp_ieee_underflow 0
		.amdhsa_exception_fp_ieee_inexact 0
		.amdhsa_exception_int_div_zero 0
	.end_amdhsa_kernel
	.section	.text._ZN2at6native12_GLOBAL__N_125multi_tensor_apply_kernelINS1_18TensorListMetadataILi2EEENS1_27BinaryOpScalarTensorFunctorIN3c107complexIdEELi2ELi1ELi1EEEJSt4plusIS8_EPS8_S8_EEEvT_T0_DpT1_,"axG",@progbits,_ZN2at6native12_GLOBAL__N_125multi_tensor_apply_kernelINS1_18TensorListMetadataILi2EEENS1_27BinaryOpScalarTensorFunctorIN3c107complexIdEELi2ELi1ELi1EEEJSt4plusIS8_EPS8_S8_EEEvT_T0_DpT1_,comdat
.Lfunc_end19:
	.size	_ZN2at6native12_GLOBAL__N_125multi_tensor_apply_kernelINS1_18TensorListMetadataILi2EEENS1_27BinaryOpScalarTensorFunctorIN3c107complexIdEELi2ELi1ELi1EEEJSt4plusIS8_EPS8_S8_EEEvT_T0_DpT1_, .Lfunc_end19-_ZN2at6native12_GLOBAL__N_125multi_tensor_apply_kernelINS1_18TensorListMetadataILi2EEENS1_27BinaryOpScalarTensorFunctorIN3c107complexIdEELi2ELi1ELi1EEEJSt4plusIS8_EPS8_S8_EEEvT_T0_DpT1_
                                        ; -- End function
	.set _ZN2at6native12_GLOBAL__N_125multi_tensor_apply_kernelINS1_18TensorListMetadataILi2EEENS1_27BinaryOpScalarTensorFunctorIN3c107complexIdEELi2ELi1ELi1EEEJSt4plusIS8_EPS8_S8_EEEvT_T0_DpT1_.num_vgpr, 34
	.set _ZN2at6native12_GLOBAL__N_125multi_tensor_apply_kernelINS1_18TensorListMetadataILi2EEENS1_27BinaryOpScalarTensorFunctorIN3c107complexIdEELi2ELi1ELi1EEEJSt4plusIS8_EPS8_S8_EEEvT_T0_DpT1_.num_agpr, 0
	.set _ZN2at6native12_GLOBAL__N_125multi_tensor_apply_kernelINS1_18TensorListMetadataILi2EEENS1_27BinaryOpScalarTensorFunctorIN3c107complexIdEELi2ELi1ELi1EEEJSt4plusIS8_EPS8_S8_EEEvT_T0_DpT1_.numbered_sgpr, 26
	.set _ZN2at6native12_GLOBAL__N_125multi_tensor_apply_kernelINS1_18TensorListMetadataILi2EEENS1_27BinaryOpScalarTensorFunctorIN3c107complexIdEELi2ELi1ELi1EEEJSt4plusIS8_EPS8_S8_EEEvT_T0_DpT1_.num_named_barrier, 0
	.set _ZN2at6native12_GLOBAL__N_125multi_tensor_apply_kernelINS1_18TensorListMetadataILi2EEENS1_27BinaryOpScalarTensorFunctorIN3c107complexIdEELi2ELi1ELi1EEEJSt4plusIS8_EPS8_S8_EEEvT_T0_DpT1_.private_seg_size, 0
	.set _ZN2at6native12_GLOBAL__N_125multi_tensor_apply_kernelINS1_18TensorListMetadataILi2EEENS1_27BinaryOpScalarTensorFunctorIN3c107complexIdEELi2ELi1ELi1EEEJSt4plusIS8_EPS8_S8_EEEvT_T0_DpT1_.uses_vcc, 1
	.set _ZN2at6native12_GLOBAL__N_125multi_tensor_apply_kernelINS1_18TensorListMetadataILi2EEENS1_27BinaryOpScalarTensorFunctorIN3c107complexIdEELi2ELi1ELi1EEEJSt4plusIS8_EPS8_S8_EEEvT_T0_DpT1_.uses_flat_scratch, 0
	.set _ZN2at6native12_GLOBAL__N_125multi_tensor_apply_kernelINS1_18TensorListMetadataILi2EEENS1_27BinaryOpScalarTensorFunctorIN3c107complexIdEELi2ELi1ELi1EEEJSt4plusIS8_EPS8_S8_EEEvT_T0_DpT1_.has_dyn_sized_stack, 0
	.set _ZN2at6native12_GLOBAL__N_125multi_tensor_apply_kernelINS1_18TensorListMetadataILi2EEENS1_27BinaryOpScalarTensorFunctorIN3c107complexIdEELi2ELi1ELi1EEEJSt4plusIS8_EPS8_S8_EEEvT_T0_DpT1_.has_recursion, 0
	.set _ZN2at6native12_GLOBAL__N_125multi_tensor_apply_kernelINS1_18TensorListMetadataILi2EEENS1_27BinaryOpScalarTensorFunctorIN3c107complexIdEELi2ELi1ELi1EEEJSt4plusIS8_EPS8_S8_EEEvT_T0_DpT1_.has_indirect_call, 0
	.section	.AMDGPU.csdata,"",@progbits
; Kernel info:
; codeLenInByte = 1544
; TotalNumSgprs: 28
; NumVgprs: 34
; ScratchSize: 0
; MemoryBound: 1
; FloatMode: 240
; IeeeMode: 1
; LDSByteSize: 0 bytes/workgroup (compile time only)
; SGPRBlocks: 0
; VGPRBlocks: 4
; NumSGPRsForWavesPerEU: 28
; NumVGPRsForWavesPerEU: 34
; Occupancy: 16
; WaveLimiterHint : 0
; COMPUTE_PGM_RSRC2:SCRATCH_EN: 0
; COMPUTE_PGM_RSRC2:USER_SGPR: 2
; COMPUTE_PGM_RSRC2:TRAP_HANDLER: 0
; COMPUTE_PGM_RSRC2:TGID_X_EN: 1
; COMPUTE_PGM_RSRC2:TGID_Y_EN: 0
; COMPUTE_PGM_RSRC2:TGID_Z_EN: 0
; COMPUTE_PGM_RSRC2:TIDIG_COMP_CNT: 0
	.section	.text._ZN2at6native12_GLOBAL__N_125multi_tensor_apply_kernelINS1_18TensorListMetadataILi2EEENS1_27BinaryOpScalarTensorFunctorIN3c107complexIfEELi2ELi1ELi1EEEJSt4plusIS8_EPS8_S8_EEEvT_T0_DpT1_,"axG",@progbits,_ZN2at6native12_GLOBAL__N_125multi_tensor_apply_kernelINS1_18TensorListMetadataILi2EEENS1_27BinaryOpScalarTensorFunctorIN3c107complexIfEELi2ELi1ELi1EEEJSt4plusIS8_EPS8_S8_EEEvT_T0_DpT1_,comdat
	.globl	_ZN2at6native12_GLOBAL__N_125multi_tensor_apply_kernelINS1_18TensorListMetadataILi2EEENS1_27BinaryOpScalarTensorFunctorIN3c107complexIfEELi2ELi1ELi1EEEJSt4plusIS8_EPS8_S8_EEEvT_T0_DpT1_ ; -- Begin function _ZN2at6native12_GLOBAL__N_125multi_tensor_apply_kernelINS1_18TensorListMetadataILi2EEENS1_27BinaryOpScalarTensorFunctorIN3c107complexIfEELi2ELi1ELi1EEEJSt4plusIS8_EPS8_S8_EEEvT_T0_DpT1_
	.p2align	8
	.type	_ZN2at6native12_GLOBAL__N_125multi_tensor_apply_kernelINS1_18TensorListMetadataILi2EEENS1_27BinaryOpScalarTensorFunctorIN3c107complexIfEELi2ELi1ELi1EEEJSt4plusIS8_EPS8_S8_EEEvT_T0_DpT1_,@function
_ZN2at6native12_GLOBAL__N_125multi_tensor_apply_kernelINS1_18TensorListMetadataILi2EEENS1_27BinaryOpScalarTensorFunctorIN3c107complexIfEELi2ELi1ELi1EEEJSt4plusIS8_EPS8_S8_EEEvT_T0_DpT1_: ; @_ZN2at6native12_GLOBAL__N_125multi_tensor_apply_kernelINS1_18TensorListMetadataILi2EEENS1_27BinaryOpScalarTensorFunctorIN3c107complexIfEELi2ELi1ELi1EEEJSt4plusIS8_EPS8_S8_EEEvT_T0_DpT1_
; %bb.0:
	s_mov_b32 s2, ttmp9
	s_mov_b32 s3, 0
	s_delay_alu instid0(SALU_CYCLE_1)
	s_mul_u64 s[4:5], s[2:3], 3
	s_add_nc_u64 s[6:7], s[0:1], s[2:3]
	s_mov_b32 s19, s3
	s_add_nc_u64 s[4:5], s[6:7], s[4:5]
	s_clause 0x1
	s_load_b32 s12, s[4:5], 0x740
	s_load_u8 s2, s[0:1], ttmp9 offset:0x600
	s_wait_kmcnt 0x0
	s_ashr_i32 s13, s12, 31
	s_lshl_b32 s2, s2, 3
	s_clause 0x3
	s_load_b64 s[8:9], s[0:1], s2 offset:0x0
	s_load_b64 s[10:11], s[0:1], s2 offset:0x200
	;; [unrolled: 1-line block ×3, first 2 shown]
	s_load_b128 s[4:7], s[0:1], 0xc50
	s_lshl_b64 s[16:17], s[12:13], 19
	s_lshl_b64 s[12:13], s[12:13], 16
	s_wait_kmcnt 0x0
	s_add_nc_u64 s[8:9], s[8:9], s[16:17]
	s_add_nc_u64 s[10:11], s[10:11], s[16:17]
	s_and_b32 s16, s14, 3
	s_and_b32 s18, s10, 31
	s_mov_b32 s17, s3
	s_and_b32 s2, s8, 31
	s_or_b64 s[16:17], s[18:19], s[16:17]
	s_delay_alu instid0(SALU_CYCLE_1)
	s_or_b64 s[16:17], s[16:17], s[2:3]
	s_sub_nc_u64 s[2:3], s[14:15], s[12:13]
	s_cmp_eq_u64 s[16:17], 0
	s_mov_b32 s12, -1
	s_cbranch_scc0 .LBB20_5
; %bb.1:
	v_cmp_gt_i64_e64 s12, 0x10000, s[2:3]
	v_dual_mov_b32 v2, 0 :: v_dual_lshlrev_b32 v1, 2, v0
	s_mov_b32 s20, exec_lo
	s_and_b32 s12, s12, exec_lo
	s_cselect_b32 s13, s3, 0
	s_cselect_b32 s12, s2, 0x10000
	s_delay_alu instid0(SALU_CYCLE_1)
	v_cmpx_gt_i64_e64 s[12:13], v[1:2]
	s_cbranch_execz .LBB20_4
; %bb.2:
	s_load_b32 s14, s[0:1], 0xc6c
	v_mov_b32_e32 v1, v2
	v_lshlrev_b32_e32 v5, 5, v0
	s_mov_b32 s15, 0
	s_mov_b64 s[16:17], s[8:9]
	s_mov_b32 s22, s15
	v_dual_mov_b32 v4, v1 :: v_dual_mov_b32 v3, v0
	s_mov_b64 s[18:19], s[10:11]
	s_wait_kmcnt 0x0
	s_and_b32 s21, s14, 0xffff
	s_delay_alu instid0(SALU_CYCLE_1)
	s_lshl_b32 s14, s21, 5
.LBB20_3:                               ; =>This Inner Loop Header: Depth=1
	global_load_b64 v[14:15], v2, s[4:5]
	v_add_co_u32 v10, s23, s16, v5
	s_wait_alu 0xf1ff
	v_add_co_ci_u32_e64 v11, null, s17, 0, s23
	v_add_co_u32 v3, vcc_lo, v3, s21
	s_clause 0x1
	global_load_b128 v[6:9], v[10:11], off
	global_load_b128 v[10:13], v[10:11], off offset:16
	s_wait_alu 0xfffd
	v_add_co_ci_u32_e64 v4, null, 0, v4, vcc_lo
	v_add_co_u32 v16, s23, s18, v5
	s_wait_alu 0xf1ff
	v_add_co_ci_u32_e64 v17, null, s19, 0, s23
	s_delay_alu instid0(VALU_DEP_3) | instskip(SKIP_2) | instid1(VALU_DEP_1)
	v_lshlrev_b64_e32 v[18:19], 2, v[3:4]
	s_add_nc_u64 s[18:19], s[18:19], s[14:15]
	s_add_nc_u64 s[16:17], s[16:17], s[14:15]
	v_cmp_le_i64_e32 vcc_lo, s[12:13], v[18:19]
	s_or_b32 s22, vcc_lo, s22
	s_wait_loadcnt 0x2
	v_mul_f32_e32 v1, s7, v15
	s_delay_alu instid0(VALU_DEP_1) | instskip(NEXT) | instid1(VALU_DEP_1)
	v_xor_b32_e32 v1, 0x80000000, v1
	v_fmac_f32_e32 v1, s6, v14
	s_wait_loadcnt 0x1
	s_delay_alu instid0(VALU_DEP_1) | instskip(NEXT) | instid1(VALU_DEP_1)
	v_dual_mul_f32 v15, s6, v15 :: v_dual_add_f32 v6, v6, v1
	v_dual_fmac_f32 v15, s7, v14 :: v_dual_add_f32 v8, v8, v1
	s_wait_loadcnt 0x0
	v_add_f32_e32 v10, v10, v1
	s_delay_alu instid0(VALU_DEP_2)
	v_dual_add_f32 v12, v12, v1 :: v_dual_add_f32 v9, v9, v15
	v_add_f32_e32 v7, v7, v15
	v_add_f32_e32 v11, v11, v15
	;; [unrolled: 1-line block ×3, first 2 shown]
	s_clause 0x1
	global_store_b128 v[16:17], v[6:9], off
	global_store_b128 v[16:17], v[10:13], off offset:16
	s_wait_alu 0xfffe
	s_and_not1_b32 exec_lo, exec_lo, s22
	s_cbranch_execnz .LBB20_3
.LBB20_4:
	s_or_b32 exec_lo, exec_lo, s20
	s_mov_b32 s12, 0
.LBB20_5:
	s_wait_alu 0xfffe
	s_and_not1_b32 vcc_lo, exec_lo, s12
	s_wait_alu 0xfffe
	s_cbranch_vccnz .LBB20_25
; %bb.6:
	v_cmp_lt_i64_e64 s12, s[2:3], 1
	s_and_b32 vcc_lo, exec_lo, s12
	s_wait_alu 0xfffe
	s_cbranch_vccnz .LBB20_25
; %bb.7:
	s_load_b32 s0, s[0:1], 0xc6c
	v_cmp_gt_i64_e64 s1, 0x10000, s[2:3]
	v_cmp_gt_u64_e64 s12, 0x10000, s[2:3]
	v_mov_b32_e32 v17, 0
	s_mov_b32 s13, 0
	s_mov_b64 s[18:19], 0
	s_and_b32 s1, s1, exec_lo
	s_cselect_b32 s15, s3, 0
	s_cselect_b32 s14, s2, 0x10000
	s_wait_kmcnt 0x0
	s_and_b32 s20, s0, 0xffff
	s_and_b32 s0, s12, exec_lo
	s_cselect_b32 s17, s3, 0
	s_cselect_b32 s16, s2, 0x10000
	s_wait_alu 0xfffe
	s_lshl_b32 s21, s20, 1
	s_mul_i32 s22, s20, 3
	s_lshl_b32 s12, s20, 2
	s_branch .LBB20_9
.LBB20_8:                               ;   in Loop: Header=BB20_9 Depth=1
	s_wait_alu 0xfffe
	s_or_b32 exec_lo, exec_lo, s0
	s_add_nc_u64 s[18:19], s[18:19], s[12:13]
	s_wait_alu 0xfffe
	v_cmp_ge_i64_e64 s0, s[18:19], s[14:15]
	s_and_b32 vcc_lo, exec_lo, s0
	s_wait_alu 0xfffe
	s_cbranch_vccnz .LBB20_25
.LBB20_9:                               ; =>This Inner Loop Header: Depth=1
	v_add_co_u32 v3, s0, s18, v0
	s_wait_alu 0xf1ff
	v_add_co_ci_u32_e64 v4, null, s19, 0, s0
	v_dual_mov_b32 v6, 0 :: v_dual_mov_b32 v5, 0
	s_delay_alu instid0(VALU_DEP_2)
	v_cmp_gt_u64_e32 vcc_lo, s[16:17], v[3:4]
	s_and_saveexec_b32 s1, vcc_lo
	s_cbranch_execz .LBB20_11
; %bb.10:                               ;   in Loop: Header=BB20_9 Depth=1
	v_lshlrev_b64_e32 v[1:2], 3, v[3:4]
	s_delay_alu instid0(VALU_DEP_1) | instskip(SKIP_1) | instid1(VALU_DEP_2)
	v_add_co_u32 v1, s0, s8, v1
	s_wait_alu 0xf1ff
	v_add_co_ci_u32_e64 v2, null, s9, v2, s0
	global_load_b64 v[5:6], v[1:2], off
.LBB20_11:                              ;   in Loop: Header=BB20_9 Depth=1
	s_wait_alu 0xfffe
	s_or_b32 exec_lo, exec_lo, s1
	v_add_co_u32 v7, s0, v3, s20
	s_wait_alu 0xf1ff
	v_add_co_ci_u32_e64 v8, null, 0, v4, s0
	v_dual_mov_b32 v2, 0 :: v_dual_mov_b32 v11, 0
	v_mov_b32_e32 v12, 0
	s_delay_alu instid0(VALU_DEP_3)
	v_cmp_gt_u64_e64 s0, s[16:17], v[7:8]
	s_and_saveexec_b32 s2, s0
	s_cbranch_execz .LBB20_13
; %bb.12:                               ;   in Loop: Header=BB20_9 Depth=1
	v_lshlrev_b64_e32 v[9:10], 3, v[7:8]
	s_delay_alu instid0(VALU_DEP_1) | instskip(SKIP_1) | instid1(VALU_DEP_2)
	v_add_co_u32 v9, s1, s8, v9
	s_wait_alu 0xf1ff
	v_add_co_ci_u32_e64 v10, null, s9, v10, s1
	global_load_b64 v[11:12], v[9:10], off
.LBB20_13:                              ;   in Loop: Header=BB20_9 Depth=1
	s_wait_alu 0xfffe
	s_or_b32 exec_lo, exec_lo, s2
	v_add_co_u32 v9, s1, v3, s21
	s_wait_alu 0xf1ff
	v_add_co_ci_u32_e64 v10, null, 0, v4, s1
	v_mov_b32_e32 v1, 0
	s_delay_alu instid0(VALU_DEP_2)
	v_cmp_gt_u64_e64 s1, s[16:17], v[9:10]
	s_and_saveexec_b32 s3, s1
	s_cbranch_execz .LBB20_15
; %bb.14:                               ;   in Loop: Header=BB20_9 Depth=1
	v_lshlrev_b64_e32 v[1:2], 3, v[9:10]
	s_delay_alu instid0(VALU_DEP_1) | instskip(SKIP_1) | instid1(VALU_DEP_2)
	v_add_co_u32 v1, s2, s8, v1
	s_wait_alu 0xf1ff
	v_add_co_ci_u32_e64 v2, null, s9, v2, s2
	global_load_b64 v[1:2], v[1:2], off
.LBB20_15:                              ;   in Loop: Header=BB20_9 Depth=1
	s_wait_alu 0xfffe
	s_or_b32 exec_lo, exec_lo, s3
	v_add_co_u32 v13, s2, v3, s22
	s_wait_alu 0xf1ff
	v_add_co_ci_u32_e64 v14, null, 0, v4, s2
	v_mov_b32_e32 v15, 0
	v_mov_b32_e32 v16, 0
	s_delay_alu instid0(VALU_DEP_3)
	v_cmp_gt_u64_e64 s2, s[16:17], v[13:14]
	s_and_saveexec_b32 s23, s2
	s_cbranch_execz .LBB20_17
; %bb.16:                               ;   in Loop: Header=BB20_9 Depth=1
	v_lshlrev_b64_e32 v[15:16], 3, v[13:14]
	s_delay_alu instid0(VALU_DEP_1) | instskip(SKIP_1) | instid1(VALU_DEP_2)
	v_add_co_u32 v15, s3, s8, v15
	s_wait_alu 0xf1ff
	v_add_co_ci_u32_e64 v16, null, s9, v16, s3
	global_load_b64 v[15:16], v[15:16], off
.LBB20_17:                              ;   in Loop: Header=BB20_9 Depth=1
	s_wait_alu 0xfffe
	s_or_b32 exec_lo, exec_lo, s23
	global_load_b64 v[20:21], v17, s[4:5]
	s_wait_loadcnt 0x0
	v_mul_f32_e32 v19, s6, v21
	s_delay_alu instid0(VALU_DEP_1) | instskip(NEXT) | instid1(VALU_DEP_1)
	v_dual_mul_f32 v18, s7, v21 :: v_dual_fmac_f32 v19, s7, v20
	v_xor_b32_e32 v18, 0x80000000, v18
	s_delay_alu instid0(VALU_DEP_1)
	v_fmac_f32_e32 v18, s6, v20
	s_and_saveexec_b32 s3, vcc_lo
	s_cbranch_execnz .LBB20_21
; %bb.18:                               ;   in Loop: Header=BB20_9 Depth=1
	s_wait_alu 0xfffe
	s_or_b32 exec_lo, exec_lo, s3
	s_and_saveexec_b32 s3, s0
	s_cbranch_execnz .LBB20_22
.LBB20_19:                              ;   in Loop: Header=BB20_9 Depth=1
	s_wait_alu 0xfffe
	s_or_b32 exec_lo, exec_lo, s3
	s_and_saveexec_b32 s0, s1
	s_cbranch_execnz .LBB20_23
.LBB20_20:                              ;   in Loop: Header=BB20_9 Depth=1
	s_wait_alu 0xfffe
	s_or_b32 exec_lo, exec_lo, s0
	s_and_saveexec_b32 s0, s2
	s_cbranch_execz .LBB20_8
	s_branch .LBB20_24
.LBB20_21:                              ;   in Loop: Header=BB20_9 Depth=1
	v_lshlrev_b64_e32 v[3:4], 3, v[3:4]
	s_delay_alu instid0(VALU_DEP_2) | instskip(NEXT) | instid1(VALU_DEP_2)
	v_dual_add_f32 v5, v5, v18 :: v_dual_add_f32 v6, v6, v19
	v_add_co_u32 v3, vcc_lo, s10, v3
	s_wait_alu 0xfffd
	s_delay_alu instid0(VALU_DEP_3)
	v_add_co_ci_u32_e64 v4, null, s11, v4, vcc_lo
	global_store_b64 v[3:4], v[5:6], off
	s_wait_alu 0xfffe
	s_or_b32 exec_lo, exec_lo, s3
	s_and_saveexec_b32 s3, s0
	s_cbranch_execz .LBB20_19
.LBB20_22:                              ;   in Loop: Header=BB20_9 Depth=1
	v_lshlrev_b64_e32 v[3:4], 3, v[7:8]
	v_dual_add_f32 v5, v11, v18 :: v_dual_add_f32 v6, v12, v19
	s_delay_alu instid0(VALU_DEP_2) | instskip(SKIP_1) | instid1(VALU_DEP_3)
	v_add_co_u32 v3, vcc_lo, s10, v3
	s_wait_alu 0xfffd
	v_add_co_ci_u32_e64 v4, null, s11, v4, vcc_lo
	global_store_b64 v[3:4], v[5:6], off
	s_wait_alu 0xfffe
	s_or_b32 exec_lo, exec_lo, s3
	s_and_saveexec_b32 s0, s1
	s_cbranch_execz .LBB20_20
.LBB20_23:                              ;   in Loop: Header=BB20_9 Depth=1
	v_lshlrev_b64_e32 v[3:4], 3, v[9:10]
	v_dual_add_f32 v1, v1, v18 :: v_dual_add_f32 v2, v2, v19
	s_delay_alu instid0(VALU_DEP_2) | instskip(SKIP_1) | instid1(VALU_DEP_3)
	v_add_co_u32 v3, vcc_lo, s10, v3
	s_wait_alu 0xfffd
	v_add_co_ci_u32_e64 v4, null, s11, v4, vcc_lo
	global_store_b64 v[3:4], v[1:2], off
	s_wait_alu 0xfffe
	s_or_b32 exec_lo, exec_lo, s0
	s_and_saveexec_b32 s0, s2
	s_cbranch_execz .LBB20_8
.LBB20_24:                              ;   in Loop: Header=BB20_9 Depth=1
	v_lshlrev_b64_e32 v[1:2], 3, v[13:14]
	v_dual_add_f32 v3, v18, v15 :: v_dual_add_f32 v4, v19, v16
	s_delay_alu instid0(VALU_DEP_2) | instskip(SKIP_1) | instid1(VALU_DEP_3)
	v_add_co_u32 v1, vcc_lo, s10, v1
	s_wait_alu 0xfffd
	v_add_co_ci_u32_e64 v2, null, s11, v2, vcc_lo
	global_store_b64 v[1:2], v[3:4], off
	s_branch .LBB20_8
.LBB20_25:
	s_endpgm
	.section	.rodata,"a",@progbits
	.p2align	6, 0x0
	.amdhsa_kernel _ZN2at6native12_GLOBAL__N_125multi_tensor_apply_kernelINS1_18TensorListMetadataILi2EEENS1_27BinaryOpScalarTensorFunctorIN3c107complexIfEELi2ELi1ELi1EEEJSt4plusIS8_EPS8_S8_EEEvT_T0_DpT1_
		.amdhsa_group_segment_fixed_size 0
		.amdhsa_private_segment_fixed_size 0
		.amdhsa_kernarg_size 3424
		.amdhsa_user_sgpr_count 2
		.amdhsa_user_sgpr_dispatch_ptr 0
		.amdhsa_user_sgpr_queue_ptr 0
		.amdhsa_user_sgpr_kernarg_segment_ptr 1
		.amdhsa_user_sgpr_dispatch_id 0
		.amdhsa_user_sgpr_private_segment_size 0
		.amdhsa_wavefront_size32 1
		.amdhsa_uses_dynamic_stack 0
		.amdhsa_enable_private_segment 0
		.amdhsa_system_sgpr_workgroup_id_x 1
		.amdhsa_system_sgpr_workgroup_id_y 0
		.amdhsa_system_sgpr_workgroup_id_z 0
		.amdhsa_system_sgpr_workgroup_info 0
		.amdhsa_system_vgpr_workitem_id 0
		.amdhsa_next_free_vgpr 22
		.amdhsa_next_free_sgpr 24
		.amdhsa_reserve_vcc 1
		.amdhsa_float_round_mode_32 0
		.amdhsa_float_round_mode_16_64 0
		.amdhsa_float_denorm_mode_32 3
		.amdhsa_float_denorm_mode_16_64 3
		.amdhsa_fp16_overflow 0
		.amdhsa_workgroup_processor_mode 1
		.amdhsa_memory_ordered 1
		.amdhsa_forward_progress 1
		.amdhsa_inst_pref_size 12
		.amdhsa_round_robin_scheduling 0
		.amdhsa_exception_fp_ieee_invalid_op 0
		.amdhsa_exception_fp_denorm_src 0
		.amdhsa_exception_fp_ieee_div_zero 0
		.amdhsa_exception_fp_ieee_overflow 0
		.amdhsa_exception_fp_ieee_underflow 0
		.amdhsa_exception_fp_ieee_inexact 0
		.amdhsa_exception_int_div_zero 0
	.end_amdhsa_kernel
	.section	.text._ZN2at6native12_GLOBAL__N_125multi_tensor_apply_kernelINS1_18TensorListMetadataILi2EEENS1_27BinaryOpScalarTensorFunctorIN3c107complexIfEELi2ELi1ELi1EEEJSt4plusIS8_EPS8_S8_EEEvT_T0_DpT1_,"axG",@progbits,_ZN2at6native12_GLOBAL__N_125multi_tensor_apply_kernelINS1_18TensorListMetadataILi2EEENS1_27BinaryOpScalarTensorFunctorIN3c107complexIfEELi2ELi1ELi1EEEJSt4plusIS8_EPS8_S8_EEEvT_T0_DpT1_,comdat
.Lfunc_end20:
	.size	_ZN2at6native12_GLOBAL__N_125multi_tensor_apply_kernelINS1_18TensorListMetadataILi2EEENS1_27BinaryOpScalarTensorFunctorIN3c107complexIfEELi2ELi1ELi1EEEJSt4plusIS8_EPS8_S8_EEEvT_T0_DpT1_, .Lfunc_end20-_ZN2at6native12_GLOBAL__N_125multi_tensor_apply_kernelINS1_18TensorListMetadataILi2EEENS1_27BinaryOpScalarTensorFunctorIN3c107complexIfEELi2ELi1ELi1EEEJSt4plusIS8_EPS8_S8_EEEvT_T0_DpT1_
                                        ; -- End function
	.set _ZN2at6native12_GLOBAL__N_125multi_tensor_apply_kernelINS1_18TensorListMetadataILi2EEENS1_27BinaryOpScalarTensorFunctorIN3c107complexIfEELi2ELi1ELi1EEEJSt4plusIS8_EPS8_S8_EEEvT_T0_DpT1_.num_vgpr, 22
	.set _ZN2at6native12_GLOBAL__N_125multi_tensor_apply_kernelINS1_18TensorListMetadataILi2EEENS1_27BinaryOpScalarTensorFunctorIN3c107complexIfEELi2ELi1ELi1EEEJSt4plusIS8_EPS8_S8_EEEvT_T0_DpT1_.num_agpr, 0
	.set _ZN2at6native12_GLOBAL__N_125multi_tensor_apply_kernelINS1_18TensorListMetadataILi2EEENS1_27BinaryOpScalarTensorFunctorIN3c107complexIfEELi2ELi1ELi1EEEJSt4plusIS8_EPS8_S8_EEEvT_T0_DpT1_.numbered_sgpr, 24
	.set _ZN2at6native12_GLOBAL__N_125multi_tensor_apply_kernelINS1_18TensorListMetadataILi2EEENS1_27BinaryOpScalarTensorFunctorIN3c107complexIfEELi2ELi1ELi1EEEJSt4plusIS8_EPS8_S8_EEEvT_T0_DpT1_.num_named_barrier, 0
	.set _ZN2at6native12_GLOBAL__N_125multi_tensor_apply_kernelINS1_18TensorListMetadataILi2EEENS1_27BinaryOpScalarTensorFunctorIN3c107complexIfEELi2ELi1ELi1EEEJSt4plusIS8_EPS8_S8_EEEvT_T0_DpT1_.private_seg_size, 0
	.set _ZN2at6native12_GLOBAL__N_125multi_tensor_apply_kernelINS1_18TensorListMetadataILi2EEENS1_27BinaryOpScalarTensorFunctorIN3c107complexIfEELi2ELi1ELi1EEEJSt4plusIS8_EPS8_S8_EEEvT_T0_DpT1_.uses_vcc, 1
	.set _ZN2at6native12_GLOBAL__N_125multi_tensor_apply_kernelINS1_18TensorListMetadataILi2EEENS1_27BinaryOpScalarTensorFunctorIN3c107complexIfEELi2ELi1ELi1EEEJSt4plusIS8_EPS8_S8_EEEvT_T0_DpT1_.uses_flat_scratch, 0
	.set _ZN2at6native12_GLOBAL__N_125multi_tensor_apply_kernelINS1_18TensorListMetadataILi2EEENS1_27BinaryOpScalarTensorFunctorIN3c107complexIfEELi2ELi1ELi1EEEJSt4plusIS8_EPS8_S8_EEEvT_T0_DpT1_.has_dyn_sized_stack, 0
	.set _ZN2at6native12_GLOBAL__N_125multi_tensor_apply_kernelINS1_18TensorListMetadataILi2EEENS1_27BinaryOpScalarTensorFunctorIN3c107complexIfEELi2ELi1ELi1EEEJSt4plusIS8_EPS8_S8_EEEvT_T0_DpT1_.has_recursion, 0
	.set _ZN2at6native12_GLOBAL__N_125multi_tensor_apply_kernelINS1_18TensorListMetadataILi2EEENS1_27BinaryOpScalarTensorFunctorIN3c107complexIfEELi2ELi1ELi1EEEJSt4plusIS8_EPS8_S8_EEEvT_T0_DpT1_.has_indirect_call, 0
	.section	.AMDGPU.csdata,"",@progbits
; Kernel info:
; codeLenInByte = 1448
; TotalNumSgprs: 26
; NumVgprs: 22
; ScratchSize: 0
; MemoryBound: 0
; FloatMode: 240
; IeeeMode: 1
; LDSByteSize: 0 bytes/workgroup (compile time only)
; SGPRBlocks: 0
; VGPRBlocks: 2
; NumSGPRsForWavesPerEU: 26
; NumVGPRsForWavesPerEU: 22
; Occupancy: 16
; WaveLimiterHint : 0
; COMPUTE_PGM_RSRC2:SCRATCH_EN: 0
; COMPUTE_PGM_RSRC2:USER_SGPR: 2
; COMPUTE_PGM_RSRC2:TRAP_HANDLER: 0
; COMPUTE_PGM_RSRC2:TGID_X_EN: 1
; COMPUTE_PGM_RSRC2:TGID_Y_EN: 0
; COMPUTE_PGM_RSRC2:TGID_Z_EN: 0
; COMPUTE_PGM_RSRC2:TIDIG_COMP_CNT: 0
	.section	.text._ZN2at6native12_GLOBAL__N_125multi_tensor_apply_kernelINS1_18TensorListMetadataILi2EEENS1_27BinaryOpScalarTensorFunctorIbLi2ELi1ELi1EEEJSt4plusIbEPbbEEEvT_T0_DpT1_,"axG",@progbits,_ZN2at6native12_GLOBAL__N_125multi_tensor_apply_kernelINS1_18TensorListMetadataILi2EEENS1_27BinaryOpScalarTensorFunctorIbLi2ELi1ELi1EEEJSt4plusIbEPbbEEEvT_T0_DpT1_,comdat
	.globl	_ZN2at6native12_GLOBAL__N_125multi_tensor_apply_kernelINS1_18TensorListMetadataILi2EEENS1_27BinaryOpScalarTensorFunctorIbLi2ELi1ELi1EEEJSt4plusIbEPbbEEEvT_T0_DpT1_ ; -- Begin function _ZN2at6native12_GLOBAL__N_125multi_tensor_apply_kernelINS1_18TensorListMetadataILi2EEENS1_27BinaryOpScalarTensorFunctorIbLi2ELi1ELi1EEEJSt4plusIbEPbbEEEvT_T0_DpT1_
	.p2align	8
	.type	_ZN2at6native12_GLOBAL__N_125multi_tensor_apply_kernelINS1_18TensorListMetadataILi2EEENS1_27BinaryOpScalarTensorFunctorIbLi2ELi1ELi1EEEJSt4plusIbEPbbEEEvT_T0_DpT1_,@function
_ZN2at6native12_GLOBAL__N_125multi_tensor_apply_kernelINS1_18TensorListMetadataILi2EEENS1_27BinaryOpScalarTensorFunctorIbLi2ELi1ELi1EEEJSt4plusIbEPbbEEEvT_T0_DpT1_: ; @_ZN2at6native12_GLOBAL__N_125multi_tensor_apply_kernelINS1_18TensorListMetadataILi2EEENS1_27BinaryOpScalarTensorFunctorIbLi2ELi1ELi1EEEJSt4plusIbEPbbEEEvT_T0_DpT1_
; %bb.0:
	s_clause 0x1
	s_load_b96 s[4:6], s[0:1], 0xc50
	s_load_u8 s7, s[0:1], ttmp9 offset:0x600
	s_mov_b32 s2, ttmp9
	s_mov_b32 s3, 0
	s_delay_alu instid0(SALU_CYCLE_1) | instskip(SKIP_1) | instid1(SALU_CYCLE_1)
	s_mul_u64 s[8:9], s[2:3], 3
	s_add_nc_u64 s[2:3], s[0:1], s[2:3]
	s_add_nc_u64 s[2:3], s[2:3], s[8:9]
	s_load_b32 s2, s[2:3], 0x740
	s_wait_kmcnt 0x0
	s_bitcmp1_b32 s6, 0
	s_cselect_b32 s16, -1, 0
	s_lshl_b32 s3, s7, 3
	s_clause 0x2
	s_load_b64 s[10:11], s[0:1], s3 offset:0x400
	s_load_b64 s[6:7], s[0:1], s3 offset:0x0
	;; [unrolled: 1-line block ×3, first 2 shown]
	s_ashr_i32 s3, s2, 31
	s_delay_alu instid0(SALU_CYCLE_1) | instskip(SKIP_4) | instid1(SALU_CYCLE_1)
	s_lshl_b64 s[14:15], s[2:3], 16
	s_wait_kmcnt 0x0
	s_sub_nc_u64 s[12:13], s[10:11], s[14:15]
	s_add_nc_u64 s[2:3], s[6:7], s[14:15]
	s_or_b32 s3, s10, s8
	s_or_b32 s2, s3, s2
	s_delay_alu instid0(SALU_CYCLE_1) | instskip(NEXT) | instid1(SALU_CYCLE_1)
	s_and_b32 s2, s2, 3
	s_cmp_eq_u32 s2, 0
	s_mov_b32 s2, -1
	s_cbranch_scc0 .LBB21_5
; %bb.1:
	v_cmp_gt_i64_e64 s2, 0x10000, s[12:13]
	v_dual_mov_b32 v3, 0 :: v_dual_lshlrev_b32 v2, 2, v0
	s_mov_b32 s3, exec_lo
	s_and_b32 s2, s2, exec_lo
	s_cselect_b32 s11, s13, 0
	s_cselect_b32 s10, s12, 0x10000
	s_delay_alu instid0(SALU_CYCLE_1)
	v_cmpx_gt_i64_e64 s[10:11], v[2:3]
	s_cbranch_execz .LBB21_4
; %bb.2:
	s_load_b32 s2, s[0:1], 0xc6c
	v_mov_b32_e32 v1, v3
	v_add_co_u32 v4, s17, s14, v2
	s_delay_alu instid0(VALU_DEP_1) | instskip(NEXT) | instid1(VALU_DEP_3)
	v_add_co_ci_u32_e64 v5, null, s15, 0, s17
	v_mov_b32_e32 v2, v1
	v_mov_b32_e32 v1, v0
	s_mov_b32 s18, 0
	s_wait_kmcnt 0x0
	s_and_b32 s17, s2, 0xffff
	s_wait_alu 0xfffe
	s_lshl_b32 s19, s17, 2
.LBB21_3:                               ; =>This Inner Loop Header: Depth=1
	global_load_u8 v8, v3, s[4:5]
	v_add_co_u32 v6, vcc_lo, s6, v4
	s_wait_alu 0xfffd
	v_add_co_ci_u32_e64 v7, null, s7, v5, vcc_lo
	v_add_co_u32 v1, vcc_lo, v1, s17
	s_wait_alu 0xfffd
	v_add_co_ci_u32_e64 v2, null, 0, v2, vcc_lo
	global_load_b32 v6, v[6:7], off
	s_wait_loadcnt 0x1
	v_cmp_ne_u32_e32 vcc_lo, 0, v8
	s_and_b32 s2, s16, vcc_lo
	s_wait_alu 0xfffe
	v_cndmask_b32_e64 v7, 0, 1, s2
	s_wait_loadcnt 0x0
	v_lshrrev_b16 v8, 8, v6
	v_lshrrev_b32_e32 v9, 24, v6
	v_lshrrev_b32_e32 v10, 16, v6
	v_or_b32_e32 v6, v6, v7
	s_delay_alu instid0(VALU_DEP_4) | instskip(NEXT) | instid1(VALU_DEP_4)
	v_or_b32_e32 v8, v8, v7
	v_or_b32_e32 v9, v9, v7
	s_delay_alu instid0(VALU_DEP_4) | instskip(NEXT) | instid1(VALU_DEP_4)
	v_or_b32_e32 v7, v10, v7
	v_and_b32_e32 v6, 0xff, v6
	s_delay_alu instid0(VALU_DEP_4) | instskip(NEXT) | instid1(VALU_DEP_3)
	v_cmp_ne_u16_e32 vcc_lo, 0, v8
	v_and_b32_e32 v7, 0xff, v7
	s_wait_alu 0xfffd
	v_cndmask_b32_e64 v8, 0, 1, vcc_lo
	v_cmp_ne_u16_e32 vcc_lo, 0, v9
	s_delay_alu instid0(VALU_DEP_2) | instskip(SKIP_3) | instid1(VALU_DEP_2)
	v_lshlrev_b16 v10, 8, v8
	s_wait_alu 0xfffd
	v_cndmask_b32_e64 v9, 0, 1, vcc_lo
	v_cmp_ne_u16_e32 vcc_lo, 0, v6
	v_lshlrev_b16 v12, 8, v9
	s_wait_alu 0xfffd
	v_cndmask_b32_e64 v11, 0, 1, vcc_lo
	v_cmp_ne_u16_e32 vcc_lo, 0, v7
	v_lshlrev_b64_e32 v[8:9], 2, v[1:2]
	s_delay_alu instid0(VALU_DEP_3) | instskip(SKIP_4) | instid1(VALU_DEP_3)
	v_or_b32_e32 v10, v11, v10
	s_wait_alu 0xfffd
	v_cndmask_b32_e64 v7, 0, 1, vcc_lo
	v_add_co_u32 v6, vcc_lo, s8, v4
	v_add_co_u32 v4, s2, v4, s19
	v_or_b32_e32 v11, v7, v12
	v_and_b32_e32 v10, 0xffff, v10
	s_wait_alu 0xfffd
	v_add_co_ci_u32_e64 v7, null, s9, v5, vcc_lo
	v_cmp_le_i64_e32 vcc_lo, s[10:11], v[8:9]
	v_lshlrev_b32_e32 v11, 16, v11
	s_wait_alu 0xf1ff
	v_add_co_ci_u32_e64 v5, null, 0, v5, s2
	s_delay_alu instid0(VALU_DEP_2)
	v_or_b32_e32 v8, v10, v11
	s_or_b32 s18, vcc_lo, s18
	global_store_b32 v[6:7], v8, off
	s_wait_alu 0xfffe
	s_and_not1_b32 exec_lo, exec_lo, s18
	s_cbranch_execnz .LBB21_3
.LBB21_4:
	s_or_b32 exec_lo, exec_lo, s3
	s_mov_b32 s2, 0
.LBB21_5:
	s_wait_alu 0xfffe
	s_and_not1_b32 vcc_lo, exec_lo, s2
	s_wait_alu 0xfffe
	s_cbranch_vccnz .LBB21_25
; %bb.6:
	v_cmp_lt_i64_e64 s2, s[12:13], 1
	s_and_b32 vcc_lo, exec_lo, s2
	s_wait_alu 0xfffe
	s_cbranch_vccnz .LBB21_25
; %bb.7:
	s_load_b32 s0, s[0:1], 0xc6c
	v_cmp_gt_i64_e64 s2, 0x10000, s[12:13]
	v_cmp_gt_u64_e64 s17, 0x10000, s[12:13]
	s_mov_b32 s1, 0
	v_add_co_u32 v16, s3, s14, v0
	s_wait_alu 0xf1ff
	v_add_co_ci_u32_e64 v17, null, s15, 0, s3
	s_and_b32 s2, s2, exec_lo
	s_cselect_b32 s11, s13, 0
	s_cselect_b32 s10, s12, 0x10000
	s_mov_b32 s3, s1
	v_add_co_u32 v2, vcc_lo, s6, v16
	s_wait_alu 0xfffd
	v_add_co_ci_u32_e64 v3, null, s7, v17, vcc_lo
	v_add_co_u32 v4, vcc_lo, s8, v16
	s_wait_alu 0xfffd
	v_add_co_ci_u32_e64 v5, null, s9, v17, vcc_lo
	s_wait_kmcnt 0x0
	s_and_b32 s20, s0, 0xffff
	s_and_b32 s0, s17, exec_lo
	s_mul_i32 s2, s20, 3
	s_cselect_b32 s13, s13, 0
	s_wait_alu 0xfffe
	s_add_nc_u64 s[18:19], s[14:15], s[2:3]
	s_cselect_b32 s12, s12, 0x10000
	s_lshl_b32 s0, s20, 1
	s_wait_alu 0xfffe
	v_add_co_u32 v8, s3, s18, v0
	s_wait_alu 0xf1ff
	v_add_co_ci_u32_e64 v9, null, s19, 0, s3
	s_add_nc_u64 s[14:15], s[14:15], s[0:1]
	v_add_co_u32 v6, vcc_lo, s6, v8
	s_wait_alu 0xfffe
	v_add_co_u32 v14, s3, s14, v0
	s_wait_alu 0xf1ff
	v_add_co_ci_u32_e64 v15, null, s15, 0, s3
	s_wait_alu 0xfffd
	v_add_co_ci_u32_e64 v7, null, s7, v9, vcc_lo
	v_add_co_u32 v8, vcc_lo, s8, v8
	s_wait_alu 0xfffd
	v_add_co_ci_u32_e64 v9, null, s9, v9, vcc_lo
	v_add_co_u32 v12, vcc_lo, s6, v14
	;; [unrolled: 3-line block ×4, first 2 shown]
	s_wait_alu 0xfffd
	v_add_co_ci_u32_e64 v21, null, 0, v17, vcc_lo
	v_add_co_u32 v16, s0, s0, v0
	s_delay_alu instid0(VALU_DEP_3)
	v_add_co_u32 v18, vcc_lo, s6, v20
	v_add_co_u32 v10, s2, s2, v0
	s_wait_alu 0xf1ff
	v_add_co_ci_u32_e64 v17, null, 0, 0, s0
	s_wait_alu 0xfffd
	v_add_co_ci_u32_e64 v19, null, s7, v21, vcc_lo
	v_add_co_u32 v20, vcc_lo, s8, v20
	v_add_co_u32 v22, s0, v0, s20
	v_mov_b32_e32 v1, 0
	v_add_co_ci_u32_e64 v11, null, 0, 0, s2
	s_wait_alu 0xfffd
	v_add_co_ci_u32_e64 v21, null, s9, v21, vcc_lo
	s_wait_alu 0xf1ff
	v_add_co_ci_u32_e64 v23, null, 0, 0, s0
	s_lshl_b32 s6, s20, 2
	s_mov_b32 s7, s1
	s_mov_b64 s[8:9], 0
	s_branch .LBB21_9
.LBB21_8:                               ;   in Loop: Header=BB21_9 Depth=1
	s_wait_alu 0xfffe
	s_or_b32 exec_lo, exec_lo, s0
	s_add_nc_u64 s[8:9], s[8:9], s[6:7]
	s_wait_alu 0xfffe
	v_cmp_ge_i64_e64 s0, s[8:9], s[10:11]
	s_and_b32 vcc_lo, exec_lo, s0
	s_wait_alu 0xfffe
	s_cbranch_vccnz .LBB21_25
.LBB21_9:                               ; =>This Inner Loop Header: Depth=1
	s_wait_alu 0xfffe
	v_add_co_u32 v24, s0, v0, s8
	s_wait_alu 0xf1ff
	v_add_co_ci_u32_e64 v25, null, 0, s9, s0
	s_delay_alu instid0(VALU_DEP_1)
	v_cmp_gt_u64_e32 vcc_lo, s[12:13], v[24:25]
	v_mov_b32_e32 v25, 0
	s_and_saveexec_b32 s1, vcc_lo
	s_cbranch_execz .LBB21_11
; %bb.10:                               ;   in Loop: Header=BB21_9 Depth=1
	v_add_co_u32 v24, s0, v2, s8
	s_wait_alu 0xf1ff
	v_add_co_ci_u32_e64 v25, null, s9, v3, s0
	global_load_u8 v25, v[24:25], off
.LBB21_11:                              ;   in Loop: Header=BB21_9 Depth=1
	s_wait_alu 0xfffe
	s_or_b32 exec_lo, exec_lo, s1
	v_add_co_u32 v26, s0, v22, s8
	s_wait_alu 0xf1ff
	v_add_co_ci_u32_e64 v27, null, s9, v23, s0
	v_mov_b32_e32 v24, 0
	s_delay_alu instid0(VALU_DEP_2)
	v_cmp_gt_u64_e64 s0, s[12:13], v[26:27]
	v_mov_b32_e32 v26, 0
	s_and_saveexec_b32 s2, s0
	s_cbranch_execz .LBB21_13
; %bb.12:                               ;   in Loop: Header=BB21_9 Depth=1
	v_add_co_u32 v26, s1, v18, s8
	s_wait_alu 0xf1ff
	v_add_co_ci_u32_e64 v27, null, s9, v19, s1
	global_load_u8 v26, v[26:27], off
.LBB21_13:                              ;   in Loop: Header=BB21_9 Depth=1
	s_wait_alu 0xfffe
	s_or_b32 exec_lo, exec_lo, s2
	v_add_co_u32 v27, s1, v16, s8
	s_wait_alu 0xf1ff
	v_add_co_ci_u32_e64 v28, null, s9, v17, s1
	s_delay_alu instid0(VALU_DEP_1)
	v_cmp_gt_u64_e64 s1, s[12:13], v[27:28]
	s_and_saveexec_b32 s3, s1
	s_cbranch_execz .LBB21_15
; %bb.14:                               ;   in Loop: Header=BB21_9 Depth=1
	v_add_co_u32 v27, s2, v12, s8
	s_wait_alu 0xf1ff
	v_add_co_ci_u32_e64 v28, null, s9, v13, s2
	global_load_u8 v24, v[27:28], off
.LBB21_15:                              ;   in Loop: Header=BB21_9 Depth=1
	s_wait_alu 0xfffe
	s_or_b32 exec_lo, exec_lo, s3
	v_add_co_u32 v27, s2, v10, s8
	s_wait_alu 0xf1ff
	v_add_co_ci_u32_e64 v28, null, s9, v11, s2
	s_delay_alu instid0(VALU_DEP_1)
	v_cmp_gt_u64_e64 s2, s[12:13], v[27:28]
	v_mov_b32_e32 v27, 0
	s_and_saveexec_b32 s14, s2
	s_cbranch_execz .LBB21_17
; %bb.16:                               ;   in Loop: Header=BB21_9 Depth=1
	v_add_co_u32 v27, s3, v6, s8
	s_wait_alu 0xf1ff
	v_add_co_ci_u32_e64 v28, null, s9, v7, s3
	global_load_u8 v27, v[27:28], off
.LBB21_17:                              ;   in Loop: Header=BB21_9 Depth=1
	s_wait_alu 0xfffe
	s_or_b32 exec_lo, exec_lo, s14
	global_load_u8 v28, v1, s[4:5]
	s_wait_loadcnt 0x0
	v_cmp_ne_u32_e64 s3, 0, v28
	s_and_b32 s3, s16, s3
	s_wait_alu 0xfffe
	v_cndmask_b32_e64 v28, 0, 1, s3
	s_delay_alu instid0(VALU_DEP_1) | instskip(NEXT) | instid1(VALU_DEP_1)
	v_or_b32_e32 v25, v25, v28
	v_and_b32_e32 v25, 0xff, v25
	s_delay_alu instid0(VALU_DEP_1)
	v_cmp_ne_u16_e64 s3, 0, v25
	s_and_saveexec_b32 s14, vcc_lo
	s_cbranch_execz .LBB21_19
; %bb.18:                               ;   in Loop: Header=BB21_9 Depth=1
	v_add_co_u32 v29, vcc_lo, v4, s8
	s_wait_alu 0xf1ff
	v_cndmask_b32_e64 v25, 0, 1, s3
	s_wait_alu 0xfffd
	v_add_co_ci_u32_e64 v30, null, s9, v5, vcc_lo
	global_store_b8 v[29:30], v25, off
.LBB21_19:                              ;   in Loop: Header=BB21_9 Depth=1
	s_wait_alu 0xfffe
	s_or_b32 exec_lo, exec_lo, s14
	v_or_b32_e32 v25, v26, v28
	s_delay_alu instid0(VALU_DEP_1) | instskip(NEXT) | instid1(VALU_DEP_1)
	v_and_b32_e32 v25, 0xff, v25
	v_cmp_ne_u16_e32 vcc_lo, 0, v25
	s_and_saveexec_b32 s3, s0
	s_cbranch_execz .LBB21_21
; %bb.20:                               ;   in Loop: Header=BB21_9 Depth=1
	s_wait_alu 0xfffd
	v_cndmask_b32_e64 v29, 0, 1, vcc_lo
	v_add_co_u32 v25, vcc_lo, v20, s8
	s_wait_alu 0xfffd
	v_add_co_ci_u32_e64 v26, null, s9, v21, vcc_lo
	global_store_b8 v[25:26], v29, off
.LBB21_21:                              ;   in Loop: Header=BB21_9 Depth=1
	s_wait_alu 0xfffe
	s_or_b32 exec_lo, exec_lo, s3
	v_or_b32_e32 v24, v24, v28
	s_delay_alu instid0(VALU_DEP_1) | instskip(NEXT) | instid1(VALU_DEP_1)
	v_and_b32_e32 v24, 0xff, v24
	v_cmp_ne_u16_e32 vcc_lo, 0, v24
	s_and_saveexec_b32 s0, s1
	s_cbranch_execz .LBB21_23
; %bb.22:                               ;   in Loop: Header=BB21_9 Depth=1
	s_wait_alu 0xfffd
	v_cndmask_b32_e64 v26, 0, 1, vcc_lo
	v_add_co_u32 v24, vcc_lo, v14, s8
	s_wait_alu 0xfffd
	v_add_co_ci_u32_e64 v25, null, s9, v15, vcc_lo
	global_store_b8 v[24:25], v26, off
.LBB21_23:                              ;   in Loop: Header=BB21_9 Depth=1
	s_wait_alu 0xfffe
	s_or_b32 exec_lo, exec_lo, s0
	v_or_b32_e32 v24, v27, v28
	s_delay_alu instid0(VALU_DEP_1) | instskip(NEXT) | instid1(VALU_DEP_1)
	v_and_b32_e32 v24, 0xff, v24
	v_cmp_ne_u16_e32 vcc_lo, 0, v24
	s_and_saveexec_b32 s0, s2
	s_cbranch_execz .LBB21_8
; %bb.24:                               ;   in Loop: Header=BB21_9 Depth=1
	s_wait_alu 0xfffd
	v_cndmask_b32_e64 v26, 0, 1, vcc_lo
	v_add_co_u32 v24, vcc_lo, v8, s8
	s_wait_alu 0xfffd
	v_add_co_ci_u32_e64 v25, null, s9, v9, vcc_lo
	global_store_b8 v[24:25], v26, off
	s_branch .LBB21_8
.LBB21_25:
	s_endpgm
	.section	.rodata,"a",@progbits
	.p2align	6, 0x0
	.amdhsa_kernel _ZN2at6native12_GLOBAL__N_125multi_tensor_apply_kernelINS1_18TensorListMetadataILi2EEENS1_27BinaryOpScalarTensorFunctorIbLi2ELi1ELi1EEEJSt4plusIbEPbbEEEvT_T0_DpT1_
		.amdhsa_group_segment_fixed_size 0
		.amdhsa_private_segment_fixed_size 0
		.amdhsa_kernarg_size 3424
		.amdhsa_user_sgpr_count 2
		.amdhsa_user_sgpr_dispatch_ptr 0
		.amdhsa_user_sgpr_queue_ptr 0
		.amdhsa_user_sgpr_kernarg_segment_ptr 1
		.amdhsa_user_sgpr_dispatch_id 0
		.amdhsa_user_sgpr_private_segment_size 0
		.amdhsa_wavefront_size32 1
		.amdhsa_uses_dynamic_stack 0
		.amdhsa_enable_private_segment 0
		.amdhsa_system_sgpr_workgroup_id_x 1
		.amdhsa_system_sgpr_workgroup_id_y 0
		.amdhsa_system_sgpr_workgroup_id_z 0
		.amdhsa_system_sgpr_workgroup_info 0
		.amdhsa_system_vgpr_workitem_id 0
		.amdhsa_next_free_vgpr 31
		.amdhsa_next_free_sgpr 21
		.amdhsa_reserve_vcc 1
		.amdhsa_float_round_mode_32 0
		.amdhsa_float_round_mode_16_64 0
		.amdhsa_float_denorm_mode_32 3
		.amdhsa_float_denorm_mode_16_64 3
		.amdhsa_fp16_overflow 0
		.amdhsa_workgroup_processor_mode 1
		.amdhsa_memory_ordered 1
		.amdhsa_forward_progress 1
		.amdhsa_inst_pref_size 15
		.amdhsa_round_robin_scheduling 0
		.amdhsa_exception_fp_ieee_invalid_op 0
		.amdhsa_exception_fp_denorm_src 0
		.amdhsa_exception_fp_ieee_div_zero 0
		.amdhsa_exception_fp_ieee_overflow 0
		.amdhsa_exception_fp_ieee_underflow 0
		.amdhsa_exception_fp_ieee_inexact 0
		.amdhsa_exception_int_div_zero 0
	.end_amdhsa_kernel
	.section	.text._ZN2at6native12_GLOBAL__N_125multi_tensor_apply_kernelINS1_18TensorListMetadataILi2EEENS1_27BinaryOpScalarTensorFunctorIbLi2ELi1ELi1EEEJSt4plusIbEPbbEEEvT_T0_DpT1_,"axG",@progbits,_ZN2at6native12_GLOBAL__N_125multi_tensor_apply_kernelINS1_18TensorListMetadataILi2EEENS1_27BinaryOpScalarTensorFunctorIbLi2ELi1ELi1EEEJSt4plusIbEPbbEEEvT_T0_DpT1_,comdat
.Lfunc_end21:
	.size	_ZN2at6native12_GLOBAL__N_125multi_tensor_apply_kernelINS1_18TensorListMetadataILi2EEENS1_27BinaryOpScalarTensorFunctorIbLi2ELi1ELi1EEEJSt4plusIbEPbbEEEvT_T0_DpT1_, .Lfunc_end21-_ZN2at6native12_GLOBAL__N_125multi_tensor_apply_kernelINS1_18TensorListMetadataILi2EEENS1_27BinaryOpScalarTensorFunctorIbLi2ELi1ELi1EEEJSt4plusIbEPbbEEEvT_T0_DpT1_
                                        ; -- End function
	.set _ZN2at6native12_GLOBAL__N_125multi_tensor_apply_kernelINS1_18TensorListMetadataILi2EEENS1_27BinaryOpScalarTensorFunctorIbLi2ELi1ELi1EEEJSt4plusIbEPbbEEEvT_T0_DpT1_.num_vgpr, 31
	.set _ZN2at6native12_GLOBAL__N_125multi_tensor_apply_kernelINS1_18TensorListMetadataILi2EEENS1_27BinaryOpScalarTensorFunctorIbLi2ELi1ELi1EEEJSt4plusIbEPbbEEEvT_T0_DpT1_.num_agpr, 0
	.set _ZN2at6native12_GLOBAL__N_125multi_tensor_apply_kernelINS1_18TensorListMetadataILi2EEENS1_27BinaryOpScalarTensorFunctorIbLi2ELi1ELi1EEEJSt4plusIbEPbbEEEvT_T0_DpT1_.numbered_sgpr, 21
	.set _ZN2at6native12_GLOBAL__N_125multi_tensor_apply_kernelINS1_18TensorListMetadataILi2EEENS1_27BinaryOpScalarTensorFunctorIbLi2ELi1ELi1EEEJSt4plusIbEPbbEEEvT_T0_DpT1_.num_named_barrier, 0
	.set _ZN2at6native12_GLOBAL__N_125multi_tensor_apply_kernelINS1_18TensorListMetadataILi2EEENS1_27BinaryOpScalarTensorFunctorIbLi2ELi1ELi1EEEJSt4plusIbEPbbEEEvT_T0_DpT1_.private_seg_size, 0
	.set _ZN2at6native12_GLOBAL__N_125multi_tensor_apply_kernelINS1_18TensorListMetadataILi2EEENS1_27BinaryOpScalarTensorFunctorIbLi2ELi1ELi1EEEJSt4plusIbEPbbEEEvT_T0_DpT1_.uses_vcc, 1
	.set _ZN2at6native12_GLOBAL__N_125multi_tensor_apply_kernelINS1_18TensorListMetadataILi2EEENS1_27BinaryOpScalarTensorFunctorIbLi2ELi1ELi1EEEJSt4plusIbEPbbEEEvT_T0_DpT1_.uses_flat_scratch, 0
	.set _ZN2at6native12_GLOBAL__N_125multi_tensor_apply_kernelINS1_18TensorListMetadataILi2EEENS1_27BinaryOpScalarTensorFunctorIbLi2ELi1ELi1EEEJSt4plusIbEPbbEEEvT_T0_DpT1_.has_dyn_sized_stack, 0
	.set _ZN2at6native12_GLOBAL__N_125multi_tensor_apply_kernelINS1_18TensorListMetadataILi2EEENS1_27BinaryOpScalarTensorFunctorIbLi2ELi1ELi1EEEJSt4plusIbEPbbEEEvT_T0_DpT1_.has_recursion, 0
	.set _ZN2at6native12_GLOBAL__N_125multi_tensor_apply_kernelINS1_18TensorListMetadataILi2EEENS1_27BinaryOpScalarTensorFunctorIbLi2ELi1ELi1EEEJSt4plusIbEPbbEEEvT_T0_DpT1_.has_indirect_call, 0
	.section	.AMDGPU.csdata,"",@progbits
; Kernel info:
; codeLenInByte = 1828
; TotalNumSgprs: 23
; NumVgprs: 31
; ScratchSize: 0
; MemoryBound: 0
; FloatMode: 240
; IeeeMode: 1
; LDSByteSize: 0 bytes/workgroup (compile time only)
; SGPRBlocks: 0
; VGPRBlocks: 3
; NumSGPRsForWavesPerEU: 23
; NumVGPRsForWavesPerEU: 31
; Occupancy: 16
; WaveLimiterHint : 0
; COMPUTE_PGM_RSRC2:SCRATCH_EN: 0
; COMPUTE_PGM_RSRC2:USER_SGPR: 2
; COMPUTE_PGM_RSRC2:TRAP_HANDLER: 0
; COMPUTE_PGM_RSRC2:TGID_X_EN: 1
; COMPUTE_PGM_RSRC2:TGID_Y_EN: 0
; COMPUTE_PGM_RSRC2:TGID_Z_EN: 0
; COMPUTE_PGM_RSRC2:TIDIG_COMP_CNT: 0
	.section	.text._ZN2at6native12_GLOBAL__N_125multi_tensor_apply_kernelINS1_18TensorListMetadataILi2EEENS1_27BinaryOpScalarTensorFunctorIN3c104HalfELi2ELi1ELi1EEEJSt4plusIfEPS7_fEEEvT_T0_DpT1_,"axG",@progbits,_ZN2at6native12_GLOBAL__N_125multi_tensor_apply_kernelINS1_18TensorListMetadataILi2EEENS1_27BinaryOpScalarTensorFunctorIN3c104HalfELi2ELi1ELi1EEEJSt4plusIfEPS7_fEEEvT_T0_DpT1_,comdat
	.globl	_ZN2at6native12_GLOBAL__N_125multi_tensor_apply_kernelINS1_18TensorListMetadataILi2EEENS1_27BinaryOpScalarTensorFunctorIN3c104HalfELi2ELi1ELi1EEEJSt4plusIfEPS7_fEEEvT_T0_DpT1_ ; -- Begin function _ZN2at6native12_GLOBAL__N_125multi_tensor_apply_kernelINS1_18TensorListMetadataILi2EEENS1_27BinaryOpScalarTensorFunctorIN3c104HalfELi2ELi1ELi1EEEJSt4plusIfEPS7_fEEEvT_T0_DpT1_
	.p2align	8
	.type	_ZN2at6native12_GLOBAL__N_125multi_tensor_apply_kernelINS1_18TensorListMetadataILi2EEENS1_27BinaryOpScalarTensorFunctorIN3c104HalfELi2ELi1ELi1EEEJSt4plusIfEPS7_fEEEvT_T0_DpT1_,@function
_ZN2at6native12_GLOBAL__N_125multi_tensor_apply_kernelINS1_18TensorListMetadataILi2EEENS1_27BinaryOpScalarTensorFunctorIN3c104HalfELi2ELi1ELi1EEEJSt4plusIfEPS7_fEEEvT_T0_DpT1_: ; @_ZN2at6native12_GLOBAL__N_125multi_tensor_apply_kernelINS1_18TensorListMetadataILi2EEENS1_27BinaryOpScalarTensorFunctorIN3c104HalfELi2ELi1ELi1EEEJSt4plusIfEPS7_fEEEvT_T0_DpT1_
; %bb.0:
	s_mov_b32 s2, ttmp9
	s_mov_b32 s3, 0
	s_delay_alu instid0(SALU_CYCLE_1)
	s_mul_u64 s[4:5], s[2:3], 3
	s_add_nc_u64 s[6:7], s[0:1], s[2:3]
	s_mov_b32 s15, s3
	s_add_nc_u64 s[4:5], s[6:7], s[4:5]
	s_clause 0x1
	s_load_b32 s10, s[4:5], 0x740
	s_load_u8 s2, s[0:1], ttmp9 offset:0x600
	s_mov_b32 s21, s3
	s_wait_kmcnt 0x0
	s_ashr_i32 s11, s10, 31
	s_lshl_b32 s2, s2, 3
	s_clause 0x3
	s_load_b64 s[16:17], s[0:1], s2 offset:0x0
	s_load_b64 s[18:19], s[0:1], s2 offset:0x200
	;; [unrolled: 1-line block ×3, first 2 shown]
	s_load_b96 s[4:6], s[0:1], 0xc50
	s_lshl_b64 s[8:9], s[10:11], 17
	s_lshl_b64 s[10:11], s[10:11], 16
	s_wait_kmcnt 0x0
	s_add_nc_u64 s[22:23], s[16:17], s[8:9]
	s_and_b32 s14, s18, 7
	s_and_b32 s20, s12, 3
	;; [unrolled: 1-line block ×3, first 2 shown]
	s_or_b64 s[14:15], s[14:15], s[20:21]
	s_sub_nc_u64 s[12:13], s[12:13], s[10:11]
	s_or_b64 s[2:3], s[14:15], s[2:3]
	s_delay_alu instid0(SALU_CYCLE_1)
	s_cmp_eq_u64 s[2:3], 0
	s_mov_b32 s2, -1
	s_cbranch_scc0 .LBB22_5
; %bb.1:
	v_cmp_gt_i64_e64 s2, 0x10000, s[12:13]
	v_dual_mov_b32 v2, 0 :: v_dual_lshlrev_b32 v1, 2, v0
	s_mov_b32 s3, exec_lo
	s_and_b32 s2, s2, exec_lo
	s_cselect_b32 s11, s13, 0
	s_cselect_b32 s10, s12, 0x10000
	s_delay_alu instid0(SALU_CYCLE_1)
	v_cmpx_gt_i64_e64 s[10:11], v[1:2]
	s_cbranch_execz .LBB22_4
; %bb.2:
	s_load_b32 s2, s[0:1], 0xc6c
	v_lshlrev_b32_e32 v3, 3, v0
	v_mov_b32_e32 v1, v2
	s_mov_b32 s14, 0
	s_delay_alu instid0(VALU_DEP_2) | instskip(NEXT) | instid1(VALU_DEP_1)
	v_add_co_u32 v5, s7, s8, v3
	v_add_co_ci_u32_e64 v6, null, s9, 0, s7
	s_delay_alu instid0(VALU_DEP_3)
	v_dual_mov_b32 v4, v1 :: v_dual_mov_b32 v3, v0
	s_wait_kmcnt 0x0
	s_and_b32 s7, s2, 0xffff
	s_wait_alu 0xfffe
	s_lshl_b32 s15, s7, 3
.LBB22_3:                               ; =>This Inner Loop Header: Depth=1
	v_add_co_u32 v7, vcc_lo, s16, v5
	s_wait_alu 0xfffd
	v_add_co_ci_u32_e64 v8, null, s17, v6, vcc_lo
	v_add_co_u32 v3, vcc_lo, v3, s7
	global_load_u16 v1, v2, s[4:5]
	global_load_b64 v[7:8], v[7:8], off
	s_wait_alu 0xfffd
	v_add_co_ci_u32_e64 v4, null, 0, v4, vcc_lo
	v_add_co_u32 v9, vcc_lo, s18, v5
	s_wait_alu 0xfffd
	v_add_co_ci_u32_e64 v10, null, s19, v6, vcc_lo
	s_delay_alu instid0(VALU_DEP_3) | instskip(SKIP_3) | instid1(VALU_DEP_3)
	v_lshlrev_b64_e32 v[11:12], 2, v[3:4]
	v_add_co_u32 v5, vcc_lo, v5, s15
	s_wait_alu 0xfffd
	v_add_co_ci_u32_e64 v6, null, 0, v6, vcc_lo
	v_cmp_le_i64_e64 s2, s[10:11], v[11:12]
	s_or_b32 s14, s2, s14
	s_wait_loadcnt 0x0
	v_fma_mixlo_f16 v14, s6, v1, v8 op_sel_hi:[0,1,1]
	v_fma_mixlo_f16 v13, s6, v1, v7 op_sel_hi:[0,1,1]
	s_delay_alu instid0(VALU_DEP_2) | instskip(NEXT) | instid1(VALU_DEP_2)
	v_fma_mixhi_f16 v14, s6, v1, v8 op_sel:[0,0,1] op_sel_hi:[0,1,1]
	v_fma_mixhi_f16 v13, s6, v1, v7 op_sel:[0,0,1] op_sel_hi:[0,1,1]
	global_store_b64 v[9:10], v[13:14], off
	s_wait_alu 0xfffe
	s_and_not1_b32 exec_lo, exec_lo, s14
	s_cbranch_execnz .LBB22_3
.LBB22_4:
	s_or_b32 exec_lo, exec_lo, s3
	s_mov_b32 s2, 0
.LBB22_5:
	s_delay_alu instid0(SALU_CYCLE_1)
	s_and_not1_b32 vcc_lo, exec_lo, s2
	s_wait_alu 0xfffe
	s_cbranch_vccnz .LBB22_25
; %bb.6:
	v_cmp_lt_i64_e64 s2, s[12:13], 1
	s_and_b32 vcc_lo, exec_lo, s2
	s_wait_alu 0xfffe
	s_cbranch_vccnz .LBB22_25
; %bb.7:
	s_load_b32 s0, s[0:1], 0xc6c
	v_cmp_gt_i64_e64 s1, 0x10000, s[12:13]
	v_dual_mov_b32 v2, 0 :: v_dual_lshlrev_b32 v1, 1, v0
	v_cmp_gt_u64_e64 s2, 0x10000, s[12:13]
	s_mov_b32 s15, 0
	s_and_b32 s1, s1, exec_lo
	v_add_co_u32 v3, s3, s16, v1
	s_cselect_b32 s11, s13, 0
	s_cselect_b32 s10, s12, 0x10000
	v_add_co_ci_u32_e64 v4, null, s17, 0, s3
	v_add_co_u32 v5, s3, s18, v1
	s_wait_alu 0xf1ff
	v_add_co_ci_u32_e64 v6, null, s19, 0, s3
	s_wait_kmcnt 0x0
	s_and_b32 s0, s0, 0xffff
	s_and_b32 s1, s2, exec_lo
	s_cselect_b32 s13, s13, 0
	s_cselect_b32 s12, s12, 0x10000
	s_mul_i32 s2, s0, 3
	s_lshl_b32 s14, s0, 2
	v_mad_co_u64_u32 v[9:10], null, s0, 6, v[1:2]
	s_wait_alu 0xfffe
	v_add_co_u32 v15, s3, s14, v1
	v_add_co_u32 v1, s2, s2, v0
	s_wait_alu 0xf1ff
	v_add_co_ci_u32_e64 v11, null, 0, 0, s2
	v_add_co_u32 v14, s2, v0, s0
	s_lshl_b32 s1, s0, 1
	v_add_co_u32 v7, vcc_lo, s16, v9
	v_lshlrev_b32_e32 v22, 1, v14
	v_add_co_ci_u32_e64 v16, null, 0, 0, s3
	s_wait_alu 0xfffd
	v_add_co_ci_u32_e64 v8, null, s17, v10, vcc_lo
	v_add_co_u32 v9, vcc_lo, s18, v9
	s_wait_alu 0xfffe
	v_add_co_u32 v18, s1, s1, v0
	s_wait_alu 0xfffd
	v_add_co_ci_u32_e64 v10, null, s19, v10, vcc_lo
	v_add_co_u32 v12, vcc_lo, s16, v15
	s_wait_alu 0xf1ff
	v_add_co_ci_u32_e64 v19, null, 0, 0, s1
	v_add_co_u32 v20, s1, s16, v22
	s_wait_alu 0xfffd
	v_add_co_ci_u32_e64 v13, null, s17, v16, vcc_lo
	v_add_co_u32 v15, vcc_lo, s18, v15
	s_wait_alu 0xf1ff
	v_add_co_ci_u32_e64 v21, null, s17, 0, s1
	v_add_co_u32 v22, s1, s18, v22
	s_wait_alu 0xfffd
	v_add_co_ci_u32_e64 v16, null, s19, v16, vcc_lo
	v_add_co_ci_u32_e64 v17, null, 0, 0, s2
	s_wait_alu 0xf1ff
	v_add_co_ci_u32_e64 v23, null, s19, 0, s1
	s_lshl_b32 s7, s0, 3
	s_mov_b64 s[16:17], 0
	s_branch .LBB22_9
.LBB22_8:                               ;   in Loop: Header=BB22_9 Depth=1
	s_wait_alu 0xfffe
	s_or_b32 exec_lo, exec_lo, s0
	v_add_co_u32 v3, vcc_lo, v3, s7
	s_wait_alu 0xfffd
	v_add_co_ci_u32_e64 v4, null, 0, v4, vcc_lo
	v_add_co_u32 v5, vcc_lo, v5, s7
	s_wait_alu 0xfffd
	v_add_co_ci_u32_e64 v6, null, 0, v6, vcc_lo
	;; [unrolled: 3-line block ×5, first 2 shown]
	v_add_co_u32 v15, vcc_lo, v15, s7
	s_add_nc_u64 s[16:17], s[16:17], s[14:15]
	s_wait_alu 0xfffd
	v_add_co_ci_u32_e64 v16, null, 0, v16, vcc_lo
	v_add_co_u32 v20, vcc_lo, v20, s7
	s_wait_alu 0xfffe
	v_cmp_ge_i64_e64 s0, s[16:17], s[10:11]
	s_wait_alu 0xfffd
	v_add_co_ci_u32_e64 v21, null, 0, v21, vcc_lo
	v_add_co_u32 v22, vcc_lo, v22, s7
	s_wait_alu 0xfffd
	v_add_co_ci_u32_e64 v23, null, 0, v23, vcc_lo
	s_and_b32 vcc_lo, exec_lo, s0
	s_wait_alu 0xfffe
	s_cbranch_vccnz .LBB22_25
.LBB22_9:                               ; =>This Inner Loop Header: Depth=1
	s_wait_alu 0xfffe
	v_add_co_u32 v24, s0, v0, s16
	s_wait_alu 0xf1ff
	v_add_co_ci_u32_e64 v25, null, 0, s17, s0
	s_delay_alu instid0(VALU_DEP_1)
	v_cmp_gt_u64_e32 vcc_lo, s[12:13], v[24:25]
	v_mov_b32_e32 v25, 0
	s_and_saveexec_b32 s1, vcc_lo
	s_cbranch_execz .LBB22_11
; %bb.10:                               ;   in Loop: Header=BB22_9 Depth=1
	v_add_co_u32 v24, s0, v3, s8
	s_wait_alu 0xf1ff
	v_add_co_ci_u32_e64 v25, null, s9, v4, s0
	global_load_u16 v24, v[24:25], off
	s_wait_loadcnt 0x0
	v_cvt_f32_f16_e32 v25, v24
.LBB22_11:                              ;   in Loop: Header=BB22_9 Depth=1
	s_wait_alu 0xfffe
	s_or_b32 exec_lo, exec_lo, s1
	v_add_co_u32 v26, s0, v14, s16
	s_wait_alu 0xf1ff
	v_add_co_ci_u32_e64 v27, null, s17, v17, s0
	v_mov_b32_e32 v24, 0
	s_delay_alu instid0(VALU_DEP_2)
	v_cmp_gt_u64_e64 s0, s[12:13], v[26:27]
	v_mov_b32_e32 v26, 0
	s_and_saveexec_b32 s2, s0
	s_cbranch_execz .LBB22_13
; %bb.12:                               ;   in Loop: Header=BB22_9 Depth=1
	v_add_co_u32 v26, s1, v20, s8
	s_wait_alu 0xf1ff
	v_add_co_ci_u32_e64 v27, null, s9, v21, s1
	global_load_u16 v26, v[26:27], off
	s_wait_loadcnt 0x0
	v_cvt_f32_f16_e32 v26, v26
.LBB22_13:                              ;   in Loop: Header=BB22_9 Depth=1
	s_wait_alu 0xfffe
	s_or_b32 exec_lo, exec_lo, s2
	v_add_co_u32 v27, s1, v18, s16
	s_wait_alu 0xf1ff
	v_add_co_ci_u32_e64 v28, null, s17, v19, s1
	s_delay_alu instid0(VALU_DEP_1)
	v_cmp_gt_u64_e64 s1, s[12:13], v[27:28]
	s_and_saveexec_b32 s3, s1
	s_cbranch_execz .LBB22_15
; %bb.14:                               ;   in Loop: Header=BB22_9 Depth=1
	v_add_co_u32 v27, s2, v12, s8
	s_wait_alu 0xf1ff
	v_add_co_ci_u32_e64 v28, null, s9, v13, s2
	global_load_u16 v24, v[27:28], off
	s_wait_loadcnt 0x0
	v_cvt_f32_f16_e32 v24, v24
.LBB22_15:                              ;   in Loop: Header=BB22_9 Depth=1
	s_wait_alu 0xfffe
	s_or_b32 exec_lo, exec_lo, s3
	v_add_co_u32 v27, s2, v1, s16
	s_wait_alu 0xf1ff
	v_add_co_ci_u32_e64 v28, null, s17, v11, s2
	s_delay_alu instid0(VALU_DEP_1)
	v_cmp_gt_u64_e64 s2, s[12:13], v[27:28]
	v_mov_b32_e32 v27, 0
	s_and_saveexec_b32 s18, s2
	s_cbranch_execz .LBB22_17
; %bb.16:                               ;   in Loop: Header=BB22_9 Depth=1
	v_add_co_u32 v27, s3, v7, s8
	s_wait_alu 0xf1ff
	v_add_co_ci_u32_e64 v28, null, s9, v8, s3
	global_load_u16 v27, v[27:28], off
	s_wait_loadcnt 0x0
	v_cvt_f32_f16_e32 v27, v27
.LBB22_17:                              ;   in Loop: Header=BB22_9 Depth=1
	s_wait_alu 0xfffe
	s_or_b32 exec_lo, exec_lo, s18
	global_load_u16 v28, v2, s[4:5]
	s_wait_loadcnt 0x0
	v_cvt_f32_f16_e32 v28, v28
	s_delay_alu instid0(VALU_DEP_1)
	v_mul_f32_e32 v28, s6, v28
	s_and_saveexec_b32 s3, vcc_lo
	s_cbranch_execnz .LBB22_21
; %bb.18:                               ;   in Loop: Header=BB22_9 Depth=1
	s_wait_alu 0xfffe
	s_or_b32 exec_lo, exec_lo, s3
	s_and_saveexec_b32 s3, s0
	s_cbranch_execnz .LBB22_22
.LBB22_19:                              ;   in Loop: Header=BB22_9 Depth=1
	s_wait_alu 0xfffe
	s_or_b32 exec_lo, exec_lo, s3
	s_and_saveexec_b32 s0, s1
	s_cbranch_execnz .LBB22_23
.LBB22_20:                              ;   in Loop: Header=BB22_9 Depth=1
	s_wait_alu 0xfffe
	s_or_b32 exec_lo, exec_lo, s0
	s_and_saveexec_b32 s0, s2
	s_cbranch_execz .LBB22_8
	s_branch .LBB22_24
.LBB22_21:                              ;   in Loop: Header=BB22_9 Depth=1
	s_delay_alu instid0(VALU_DEP_1) | instskip(SKIP_3) | instid1(VALU_DEP_3)
	v_add_f32_e32 v25, v25, v28
	v_add_co_u32 v29, vcc_lo, v5, s8
	s_wait_alu 0xfffd
	v_add_co_ci_u32_e64 v30, null, s9, v6, vcc_lo
	v_cvt_f16_f32_e32 v25, v25
	global_store_b16 v[29:30], v25, off
	s_wait_alu 0xfffe
	s_or_b32 exec_lo, exec_lo, s3
	s_and_saveexec_b32 s3, s0
	s_cbranch_execz .LBB22_19
.LBB22_22:                              ;   in Loop: Header=BB22_9 Depth=1
	v_add_f32_e32 v25, v26, v28
	s_delay_alu instid0(VALU_DEP_1)
	v_cvt_f16_f32_e32 v29, v25
	v_add_co_u32 v25, vcc_lo, v22, s8
	s_wait_alu 0xfffd
	v_add_co_ci_u32_e64 v26, null, s9, v23, vcc_lo
	global_store_b16 v[25:26], v29, off
	s_wait_alu 0xfffe
	s_or_b32 exec_lo, exec_lo, s3
	s_and_saveexec_b32 s0, s1
	s_cbranch_execz .LBB22_20
.LBB22_23:                              ;   in Loop: Header=BB22_9 Depth=1
	v_add_f32_e32 v24, v24, v28
	s_delay_alu instid0(VALU_DEP_1)
	v_cvt_f16_f32_e32 v26, v24
	v_add_co_u32 v24, vcc_lo, v15, s8
	s_wait_alu 0xfffd
	v_add_co_ci_u32_e64 v25, null, s9, v16, vcc_lo
	global_store_b16 v[24:25], v26, off
	s_wait_alu 0xfffe
	s_or_b32 exec_lo, exec_lo, s0
	s_and_saveexec_b32 s0, s2
	s_cbranch_execz .LBB22_8
.LBB22_24:                              ;   in Loop: Header=BB22_9 Depth=1
	v_add_f32_e32 v24, v27, v28
	s_delay_alu instid0(VALU_DEP_1)
	v_cvt_f16_f32_e32 v26, v24
	v_add_co_u32 v24, vcc_lo, v9, s8
	s_wait_alu 0xfffd
	v_add_co_ci_u32_e64 v25, null, s9, v10, vcc_lo
	global_store_b16 v[24:25], v26, off
	s_branch .LBB22_8
.LBB22_25:
	s_endpgm
	.section	.rodata,"a",@progbits
	.p2align	6, 0x0
	.amdhsa_kernel _ZN2at6native12_GLOBAL__N_125multi_tensor_apply_kernelINS1_18TensorListMetadataILi2EEENS1_27BinaryOpScalarTensorFunctorIN3c104HalfELi2ELi1ELi1EEEJSt4plusIfEPS7_fEEEvT_T0_DpT1_
		.amdhsa_group_segment_fixed_size 0
		.amdhsa_private_segment_fixed_size 0
		.amdhsa_kernarg_size 3424
		.amdhsa_user_sgpr_count 2
		.amdhsa_user_sgpr_dispatch_ptr 0
		.amdhsa_user_sgpr_queue_ptr 0
		.amdhsa_user_sgpr_kernarg_segment_ptr 1
		.amdhsa_user_sgpr_dispatch_id 0
		.amdhsa_user_sgpr_private_segment_size 0
		.amdhsa_wavefront_size32 1
		.amdhsa_uses_dynamic_stack 0
		.amdhsa_enable_private_segment 0
		.amdhsa_system_sgpr_workgroup_id_x 1
		.amdhsa_system_sgpr_workgroup_id_y 0
		.amdhsa_system_sgpr_workgroup_id_z 0
		.amdhsa_system_sgpr_workgroup_info 0
		.amdhsa_system_vgpr_workitem_id 0
		.amdhsa_next_free_vgpr 31
		.amdhsa_next_free_sgpr 24
		.amdhsa_reserve_vcc 1
		.amdhsa_float_round_mode_32 0
		.amdhsa_float_round_mode_16_64 0
		.amdhsa_float_denorm_mode_32 3
		.amdhsa_float_denorm_mode_16_64 3
		.amdhsa_fp16_overflow 0
		.amdhsa_workgroup_processor_mode 1
		.amdhsa_memory_ordered 1
		.amdhsa_forward_progress 1
		.amdhsa_inst_pref_size 14
		.amdhsa_round_robin_scheduling 0
		.amdhsa_exception_fp_ieee_invalid_op 0
		.amdhsa_exception_fp_denorm_src 0
		.amdhsa_exception_fp_ieee_div_zero 0
		.amdhsa_exception_fp_ieee_overflow 0
		.amdhsa_exception_fp_ieee_underflow 0
		.amdhsa_exception_fp_ieee_inexact 0
		.amdhsa_exception_int_div_zero 0
	.end_amdhsa_kernel
	.section	.text._ZN2at6native12_GLOBAL__N_125multi_tensor_apply_kernelINS1_18TensorListMetadataILi2EEENS1_27BinaryOpScalarTensorFunctorIN3c104HalfELi2ELi1ELi1EEEJSt4plusIfEPS7_fEEEvT_T0_DpT1_,"axG",@progbits,_ZN2at6native12_GLOBAL__N_125multi_tensor_apply_kernelINS1_18TensorListMetadataILi2EEENS1_27BinaryOpScalarTensorFunctorIN3c104HalfELi2ELi1ELi1EEEJSt4plusIfEPS7_fEEEvT_T0_DpT1_,comdat
.Lfunc_end22:
	.size	_ZN2at6native12_GLOBAL__N_125multi_tensor_apply_kernelINS1_18TensorListMetadataILi2EEENS1_27BinaryOpScalarTensorFunctorIN3c104HalfELi2ELi1ELi1EEEJSt4plusIfEPS7_fEEEvT_T0_DpT1_, .Lfunc_end22-_ZN2at6native12_GLOBAL__N_125multi_tensor_apply_kernelINS1_18TensorListMetadataILi2EEENS1_27BinaryOpScalarTensorFunctorIN3c104HalfELi2ELi1ELi1EEEJSt4plusIfEPS7_fEEEvT_T0_DpT1_
                                        ; -- End function
	.set _ZN2at6native12_GLOBAL__N_125multi_tensor_apply_kernelINS1_18TensorListMetadataILi2EEENS1_27BinaryOpScalarTensorFunctorIN3c104HalfELi2ELi1ELi1EEEJSt4plusIfEPS7_fEEEvT_T0_DpT1_.num_vgpr, 31
	.set _ZN2at6native12_GLOBAL__N_125multi_tensor_apply_kernelINS1_18TensorListMetadataILi2EEENS1_27BinaryOpScalarTensorFunctorIN3c104HalfELi2ELi1ELi1EEEJSt4plusIfEPS7_fEEEvT_T0_DpT1_.num_agpr, 0
	.set _ZN2at6native12_GLOBAL__N_125multi_tensor_apply_kernelINS1_18TensorListMetadataILi2EEENS1_27BinaryOpScalarTensorFunctorIN3c104HalfELi2ELi1ELi1EEEJSt4plusIfEPS7_fEEEvT_T0_DpT1_.numbered_sgpr, 24
	.set _ZN2at6native12_GLOBAL__N_125multi_tensor_apply_kernelINS1_18TensorListMetadataILi2EEENS1_27BinaryOpScalarTensorFunctorIN3c104HalfELi2ELi1ELi1EEEJSt4plusIfEPS7_fEEEvT_T0_DpT1_.num_named_barrier, 0
	.set _ZN2at6native12_GLOBAL__N_125multi_tensor_apply_kernelINS1_18TensorListMetadataILi2EEENS1_27BinaryOpScalarTensorFunctorIN3c104HalfELi2ELi1ELi1EEEJSt4plusIfEPS7_fEEEvT_T0_DpT1_.private_seg_size, 0
	.set _ZN2at6native12_GLOBAL__N_125multi_tensor_apply_kernelINS1_18TensorListMetadataILi2EEENS1_27BinaryOpScalarTensorFunctorIN3c104HalfELi2ELi1ELi1EEEJSt4plusIfEPS7_fEEEvT_T0_DpT1_.uses_vcc, 1
	.set _ZN2at6native12_GLOBAL__N_125multi_tensor_apply_kernelINS1_18TensorListMetadataILi2EEENS1_27BinaryOpScalarTensorFunctorIN3c104HalfELi2ELi1ELi1EEEJSt4plusIfEPS7_fEEEvT_T0_DpT1_.uses_flat_scratch, 0
	.set _ZN2at6native12_GLOBAL__N_125multi_tensor_apply_kernelINS1_18TensorListMetadataILi2EEENS1_27BinaryOpScalarTensorFunctorIN3c104HalfELi2ELi1ELi1EEEJSt4plusIfEPS7_fEEEvT_T0_DpT1_.has_dyn_sized_stack, 0
	.set _ZN2at6native12_GLOBAL__N_125multi_tensor_apply_kernelINS1_18TensorListMetadataILi2EEENS1_27BinaryOpScalarTensorFunctorIN3c104HalfELi2ELi1ELi1EEEJSt4plusIfEPS7_fEEEvT_T0_DpT1_.has_recursion, 0
	.set _ZN2at6native12_GLOBAL__N_125multi_tensor_apply_kernelINS1_18TensorListMetadataILi2EEENS1_27BinaryOpScalarTensorFunctorIN3c104HalfELi2ELi1ELi1EEEJSt4plusIfEPS7_fEEEvT_T0_DpT1_.has_indirect_call, 0
	.section	.AMDGPU.csdata,"",@progbits
; Kernel info:
; codeLenInByte = 1760
; TotalNumSgprs: 26
; NumVgprs: 31
; ScratchSize: 0
; MemoryBound: 0
; FloatMode: 240
; IeeeMode: 1
; LDSByteSize: 0 bytes/workgroup (compile time only)
; SGPRBlocks: 0
; VGPRBlocks: 3
; NumSGPRsForWavesPerEU: 26
; NumVGPRsForWavesPerEU: 31
; Occupancy: 16
; WaveLimiterHint : 0
; COMPUTE_PGM_RSRC2:SCRATCH_EN: 0
; COMPUTE_PGM_RSRC2:USER_SGPR: 2
; COMPUTE_PGM_RSRC2:TRAP_HANDLER: 0
; COMPUTE_PGM_RSRC2:TGID_X_EN: 1
; COMPUTE_PGM_RSRC2:TGID_Y_EN: 0
; COMPUTE_PGM_RSRC2:TGID_Z_EN: 0
; COMPUTE_PGM_RSRC2:TIDIG_COMP_CNT: 0
	.section	.text._ZN2at6native12_GLOBAL__N_125multi_tensor_apply_kernelINS1_18TensorListMetadataILi2EEENS1_27BinaryOpScalarTensorFunctorIN3c108BFloat16ELi2ELi1ELi1EEEJSt4plusIfEPS7_fEEEvT_T0_DpT1_,"axG",@progbits,_ZN2at6native12_GLOBAL__N_125multi_tensor_apply_kernelINS1_18TensorListMetadataILi2EEENS1_27BinaryOpScalarTensorFunctorIN3c108BFloat16ELi2ELi1ELi1EEEJSt4plusIfEPS7_fEEEvT_T0_DpT1_,comdat
	.globl	_ZN2at6native12_GLOBAL__N_125multi_tensor_apply_kernelINS1_18TensorListMetadataILi2EEENS1_27BinaryOpScalarTensorFunctorIN3c108BFloat16ELi2ELi1ELi1EEEJSt4plusIfEPS7_fEEEvT_T0_DpT1_ ; -- Begin function _ZN2at6native12_GLOBAL__N_125multi_tensor_apply_kernelINS1_18TensorListMetadataILi2EEENS1_27BinaryOpScalarTensorFunctorIN3c108BFloat16ELi2ELi1ELi1EEEJSt4plusIfEPS7_fEEEvT_T0_DpT1_
	.p2align	8
	.type	_ZN2at6native12_GLOBAL__N_125multi_tensor_apply_kernelINS1_18TensorListMetadataILi2EEENS1_27BinaryOpScalarTensorFunctorIN3c108BFloat16ELi2ELi1ELi1EEEJSt4plusIfEPS7_fEEEvT_T0_DpT1_,@function
_ZN2at6native12_GLOBAL__N_125multi_tensor_apply_kernelINS1_18TensorListMetadataILi2EEENS1_27BinaryOpScalarTensorFunctorIN3c108BFloat16ELi2ELi1ELi1EEEJSt4plusIfEPS7_fEEEvT_T0_DpT1_: ; @_ZN2at6native12_GLOBAL__N_125multi_tensor_apply_kernelINS1_18TensorListMetadataILi2EEENS1_27BinaryOpScalarTensorFunctorIN3c108BFloat16ELi2ELi1ELi1EEEJSt4plusIfEPS7_fEEEvT_T0_DpT1_
; %bb.0:
	s_mov_b32 s2, ttmp9
	s_mov_b32 s3, 0
	s_delay_alu instid0(SALU_CYCLE_1)
	s_mul_u64 s[4:5], s[2:3], 3
	s_add_nc_u64 s[6:7], s[0:1], s[2:3]
	s_mov_b32 s17, s3
	s_add_nc_u64 s[4:5], s[6:7], s[4:5]
	s_clause 0x1
	s_load_b32 s10, s[4:5], 0x740
	s_load_u8 s2, s[0:1], ttmp9 offset:0x600
	s_mov_b32 s21, s3
	s_wait_kmcnt 0x0
	s_ashr_i32 s11, s10, 31
	s_lshl_b32 s2, s2, 3
	s_clause 0x3
	s_load_b64 s[14:15], s[0:1], s2 offset:0x0
	s_load_b64 s[18:19], s[0:1], s2 offset:0x200
	s_load_b64 s[12:13], s[0:1], s2 offset:0x400
	s_load_b96 s[4:6], s[0:1], 0xc50
	s_lshl_b64 s[8:9], s[10:11], 17
	s_lshl_b64 s[10:11], s[10:11], 16
	s_wait_kmcnt 0x0
	s_add_nc_u64 s[22:23], s[14:15], s[8:9]
	s_and_b32 s16, s18, 7
	s_and_b32 s20, s12, 3
	;; [unrolled: 1-line block ×3, first 2 shown]
	s_or_b64 s[16:17], s[16:17], s[20:21]
	s_sub_nc_u64 s[12:13], s[12:13], s[10:11]
	s_or_b64 s[2:3], s[16:17], s[2:3]
	s_delay_alu instid0(SALU_CYCLE_1)
	s_cmp_eq_u64 s[2:3], 0
	s_mov_b32 s2, -1
	s_cbranch_scc0 .LBB23_5
; %bb.1:
	v_cmp_gt_i64_e64 s2, 0x10000, s[12:13]
	v_dual_mov_b32 v2, 0 :: v_dual_lshlrev_b32 v1, 2, v0
	s_mov_b32 s7, exec_lo
	s_and_b32 s2, s2, exec_lo
	s_cselect_b32 s11, s13, 0
	s_cselect_b32 s10, s12, 0x10000
	s_delay_alu instid0(SALU_CYCLE_1)
	v_cmpx_gt_i64_e64 s[10:11], v[1:2]
	s_cbranch_execz .LBB23_4
; %bb.2:
	s_load_b32 s2, s[0:1], 0xc6c
	v_lshlrev_b32_e32 v3, 3, v0
	v_mov_b32_e32 v1, v2
	s_mov_b32 s17, 0
	s_delay_alu instid0(VALU_DEP_2) | instskip(NEXT) | instid1(VALU_DEP_1)
	v_add_co_u32 v5, s3, s8, v3
	v_add_co_ci_u32_e64 v6, null, s9, 0, s3
	s_delay_alu instid0(VALU_DEP_3) | instskip(SKIP_2) | instid1(SALU_CYCLE_1)
	v_dual_mov_b32 v4, v1 :: v_dual_mov_b32 v3, v0
	s_wait_kmcnt 0x0
	s_and_b32 s16, s2, 0xffff
	s_lshl_b32 s20, s16, 3
.LBB23_3:                               ; =>This Inner Loop Header: Depth=1
	v_add_co_u32 v7, vcc_lo, s14, v5
	s_wait_alu 0xfffd
	v_add_co_ci_u32_e64 v8, null, s15, v6, vcc_lo
	v_add_co_u32 v3, vcc_lo, v3, s16
	global_load_u16 v1, v2, s[4:5]
	global_load_b64 v[7:8], v[7:8], off
	s_wait_alu 0xfffd
	v_add_co_ci_u32_e64 v4, null, 0, v4, vcc_lo
	v_add_co_u32 v9, vcc_lo, s18, v5
	s_wait_alu 0xfffd
	v_add_co_ci_u32_e64 v10, null, s19, v6, vcc_lo
	s_delay_alu instid0(VALU_DEP_3)
	v_lshlrev_b64_e32 v[11:12], 2, v[3:4]
	s_wait_loadcnt 0x1
	v_lshlrev_b32_e32 v1, 16, v1
	s_wait_loadcnt 0x0
	v_and_b32_e32 v14, 0xffff0000, v7
	v_lshlrev_b32_e32 v13, 16, v7
	v_alignbit_b32 v7, v8, v7, 16
	s_delay_alu instid0(VALU_DEP_3) | instskip(NEXT) | instid1(VALU_DEP_3)
	v_fmac_f32_e32 v14, s6, v1
	v_fmac_f32_e32 v13, s6, v1
	s_delay_alu instid0(VALU_DEP_3) | instskip(SKIP_1) | instid1(VALU_DEP_4)
	v_and_b32_e32 v7, 0xffff0000, v7
	v_and_b32_e32 v8, 0xffff0000, v8
	v_bfe_u32 v16, v14, 16, 1
	s_delay_alu instid0(VALU_DEP_4) | instskip(NEXT) | instid1(VALU_DEP_4)
	v_bfe_u32 v15, v13, 16, 1
	v_fmac_f32_e32 v7, s6, v1
	s_delay_alu instid0(VALU_DEP_4)
	v_fmac_f32_e32 v8, s6, v1
	v_cmp_o_f32_e64 s2, v14, v14
	v_add3_u32 v16, v14, v16, 0x7fff
	v_add3_u32 v15, v13, v15, 0x7fff
	v_bfe_u32 v17, v7, 16, 1
	v_bfe_u32 v1, v8, 16, 1
	v_cmp_o_f32_e32 vcc_lo, v8, v8
	v_and_b32_e32 v16, 0xffff0000, v16
	v_lshrrev_b32_e32 v15, 16, v15
	v_add3_u32 v17, v7, v17, 0x7fff
	v_add3_u32 v1, v8, v1, 0x7fff
	v_cmp_o_f32_e64 s3, v13, v13
	s_wait_alu 0xf1ff
	v_cndmask_b32_e64 v13, 0x7fc00000, v16, s2
	v_cmp_le_i64_e64 s2, s[10:11], v[11:12]
	v_lshrrev_b32_e32 v8, 16, v17
	v_and_b32_e32 v1, 0xffff0000, v1
	v_cndmask_b32_e64 v14, 0x7fc0, v15, s3
	s_or_b32 s17, s2, s17
	s_wait_alu 0xfffd
	s_delay_alu instid0(VALU_DEP_2)
	v_cndmask_b32_e32 v1, 0x7fc00000, v1, vcc_lo
	v_cmp_o_f32_e32 vcc_lo, v7, v7
	v_or_b32_e32 v13, v14, v13
	s_wait_alu 0xfffd
	v_cndmask_b32_e32 v7, 0x7fc0, v8, vcc_lo
	v_add_co_u32 v5, vcc_lo, v5, s20
	s_wait_alu 0xfffd
	v_add_co_ci_u32_e64 v6, null, 0, v6, vcc_lo
	s_delay_alu instid0(VALU_DEP_3)
	v_or3_b32 v8, 0, v7, v1
	v_or3_b32 v7, v13, 0, 0
	global_store_b64 v[9:10], v[7:8], off
	s_wait_alu 0xfffe
	s_and_not1_b32 exec_lo, exec_lo, s17
	s_cbranch_execnz .LBB23_3
.LBB23_4:
	s_or_b32 exec_lo, exec_lo, s7
	s_mov_b32 s2, 0
.LBB23_5:
	s_wait_alu 0xfffe
	s_and_not1_b32 vcc_lo, exec_lo, s2
	s_wait_alu 0xfffe
	s_cbranch_vccnz .LBB23_25
; %bb.6:
	v_cmp_lt_i64_e64 s2, s[12:13], 1
	s_and_b32 vcc_lo, exec_lo, s2
	s_wait_alu 0xfffe
	s_cbranch_vccnz .LBB23_25
; %bb.7:
	s_load_b32 s0, s[0:1], 0xc6c
	v_cmp_gt_i64_e64 s1, 0x10000, s[12:13]
	v_dual_mov_b32 v2, 0 :: v_dual_lshlrev_b32 v1, 1, v0
	v_cmp_gt_u64_e64 s2, 0x10000, s[12:13]
	s_mov_b32 s17, 0
	s_and_b32 s1, s1, exec_lo
	v_add_co_u32 v3, s3, s14, v1
	s_cselect_b32 s11, s13, 0
	s_cselect_b32 s10, s12, 0x10000
	v_add_co_ci_u32_e64 v4, null, s15, 0, s3
	v_add_co_u32 v5, s3, s18, v1
	s_wait_alu 0xf1ff
	v_add_co_ci_u32_e64 v6, null, s19, 0, s3
	s_wait_kmcnt 0x0
	s_and_b32 s0, s0, 0xffff
	s_and_b32 s1, s2, exec_lo
	s_cselect_b32 s13, s13, 0
	s_cselect_b32 s12, s12, 0x10000
	s_mul_i32 s2, s0, 3
	s_lshl_b32 s16, s0, 2
	v_mad_co_u64_u32 v[9:10], null, s0, 6, v[1:2]
	s_wait_alu 0xfffe
	v_add_co_u32 v15, s3, s16, v1
	v_add_co_u32 v1, s2, s2, v0
	s_wait_alu 0xf1ff
	v_add_co_ci_u32_e64 v11, null, 0, 0, s2
	v_add_co_u32 v14, s2, v0, s0
	s_lshl_b32 s1, s0, 1
	v_add_co_u32 v7, vcc_lo, s14, v9
	v_lshlrev_b32_e32 v22, 1, v14
	v_add_co_ci_u32_e64 v16, null, 0, 0, s3
	s_wait_alu 0xfffd
	v_add_co_ci_u32_e64 v8, null, s15, v10, vcc_lo
	v_add_co_u32 v9, vcc_lo, s18, v9
	s_wait_alu 0xfffe
	v_add_co_u32 v18, s1, s1, v0
	s_wait_alu 0xfffd
	v_add_co_ci_u32_e64 v10, null, s19, v10, vcc_lo
	v_add_co_u32 v12, vcc_lo, s14, v15
	s_wait_alu 0xf1ff
	v_add_co_ci_u32_e64 v19, null, 0, 0, s1
	v_add_co_u32 v20, s1, s14, v22
	s_wait_alu 0xfffd
	v_add_co_ci_u32_e64 v13, null, s15, v16, vcc_lo
	v_add_co_u32 v15, vcc_lo, s18, v15
	s_wait_alu 0xf1ff
	v_add_co_ci_u32_e64 v21, null, s15, 0, s1
	v_add_co_u32 v22, s1, s18, v22
	s_wait_alu 0xfffd
	v_add_co_ci_u32_e64 v16, null, s19, v16, vcc_lo
	v_add_co_ci_u32_e64 v17, null, 0, 0, s2
	s_wait_alu 0xf1ff
	v_add_co_ci_u32_e64 v23, null, s19, 0, s1
	s_lshl_b32 s7, s0, 3
	s_mov_b64 s[14:15], 0
	s_branch .LBB23_9
.LBB23_8:                               ;   in Loop: Header=BB23_9 Depth=1
	s_wait_alu 0xfffe
	s_or_b32 exec_lo, exec_lo, s0
	v_add_co_u32 v3, vcc_lo, v3, s7
	s_wait_alu 0xfffd
	v_add_co_ci_u32_e64 v4, null, 0, v4, vcc_lo
	v_add_co_u32 v5, vcc_lo, v5, s7
	s_wait_alu 0xfffd
	v_add_co_ci_u32_e64 v6, null, 0, v6, vcc_lo
	;; [unrolled: 3-line block ×5, first 2 shown]
	v_add_co_u32 v15, vcc_lo, v15, s7
	s_add_nc_u64 s[14:15], s[14:15], s[16:17]
	s_wait_alu 0xfffd
	v_add_co_ci_u32_e64 v16, null, 0, v16, vcc_lo
	v_add_co_u32 v20, vcc_lo, v20, s7
	s_wait_alu 0xfffe
	v_cmp_ge_i64_e64 s0, s[14:15], s[10:11]
	s_wait_alu 0xfffd
	v_add_co_ci_u32_e64 v21, null, 0, v21, vcc_lo
	v_add_co_u32 v22, vcc_lo, v22, s7
	s_wait_alu 0xfffd
	v_add_co_ci_u32_e64 v23, null, 0, v23, vcc_lo
	s_and_b32 vcc_lo, exec_lo, s0
	s_wait_alu 0xfffe
	s_cbranch_vccnz .LBB23_25
.LBB23_9:                               ; =>This Inner Loop Header: Depth=1
	s_wait_alu 0xfffe
	v_add_co_u32 v24, s0, v0, s14
	s_wait_alu 0xf1ff
	v_add_co_ci_u32_e64 v25, null, 0, s15, s0
	s_delay_alu instid0(VALU_DEP_1)
	v_cmp_gt_u64_e32 vcc_lo, s[12:13], v[24:25]
	v_mov_b32_e32 v25, 0
	s_and_saveexec_b32 s1, vcc_lo
	s_cbranch_execz .LBB23_11
; %bb.10:                               ;   in Loop: Header=BB23_9 Depth=1
	v_add_co_u32 v24, s0, v3, s8
	s_wait_alu 0xf1ff
	v_add_co_ci_u32_e64 v25, null, s9, v4, s0
	global_load_u16 v24, v[24:25], off
	s_wait_loadcnt 0x0
	v_lshlrev_b32_e32 v25, 16, v24
.LBB23_11:                              ;   in Loop: Header=BB23_9 Depth=1
	s_wait_alu 0xfffe
	s_or_b32 exec_lo, exec_lo, s1
	v_add_co_u32 v26, s0, v14, s14
	s_wait_alu 0xf1ff
	v_add_co_ci_u32_e64 v27, null, s15, v17, s0
	v_mov_b32_e32 v24, 0
	s_delay_alu instid0(VALU_DEP_2)
	v_cmp_gt_u64_e64 s0, s[12:13], v[26:27]
	v_mov_b32_e32 v26, 0
	s_and_saveexec_b32 s2, s0
	s_cbranch_execz .LBB23_13
; %bb.12:                               ;   in Loop: Header=BB23_9 Depth=1
	v_add_co_u32 v26, s1, v20, s8
	s_wait_alu 0xf1ff
	v_add_co_ci_u32_e64 v27, null, s9, v21, s1
	global_load_u16 v26, v[26:27], off
	s_wait_loadcnt 0x0
	v_lshlrev_b32_e32 v26, 16, v26
.LBB23_13:                              ;   in Loop: Header=BB23_9 Depth=1
	s_wait_alu 0xfffe
	s_or_b32 exec_lo, exec_lo, s2
	v_add_co_u32 v27, s1, v18, s14
	s_wait_alu 0xf1ff
	v_add_co_ci_u32_e64 v28, null, s15, v19, s1
	s_delay_alu instid0(VALU_DEP_1)
	v_cmp_gt_u64_e64 s1, s[12:13], v[27:28]
	s_and_saveexec_b32 s3, s1
	s_cbranch_execz .LBB23_15
; %bb.14:                               ;   in Loop: Header=BB23_9 Depth=1
	v_add_co_u32 v27, s2, v12, s8
	s_wait_alu 0xf1ff
	v_add_co_ci_u32_e64 v28, null, s9, v13, s2
	global_load_u16 v24, v[27:28], off
	s_wait_loadcnt 0x0
	v_lshlrev_b32_e32 v24, 16, v24
.LBB23_15:                              ;   in Loop: Header=BB23_9 Depth=1
	s_wait_alu 0xfffe
	s_or_b32 exec_lo, exec_lo, s3
	v_add_co_u32 v27, s2, v1, s14
	s_wait_alu 0xf1ff
	v_add_co_ci_u32_e64 v28, null, s15, v11, s2
	s_delay_alu instid0(VALU_DEP_1)
	v_cmp_gt_u64_e64 s2, s[12:13], v[27:28]
	v_mov_b32_e32 v27, 0
	s_and_saveexec_b32 s18, s2
	s_cbranch_execz .LBB23_17
; %bb.16:                               ;   in Loop: Header=BB23_9 Depth=1
	v_add_co_u32 v27, s3, v7, s8
	s_wait_alu 0xf1ff
	v_add_co_ci_u32_e64 v28, null, s9, v8, s3
	global_load_u16 v27, v[27:28], off
	s_wait_loadcnt 0x0
	v_lshlrev_b32_e32 v27, 16, v27
.LBB23_17:                              ;   in Loop: Header=BB23_9 Depth=1
	s_wait_alu 0xfffe
	s_or_b32 exec_lo, exec_lo, s18
	global_load_u16 v28, v2, s[4:5]
	s_wait_loadcnt 0x0
	v_lshlrev_b32_e32 v28, 16, v28
	s_delay_alu instid0(VALU_DEP_1)
	v_mul_f32_e32 v28, s6, v28
	s_and_saveexec_b32 s3, vcc_lo
	s_cbranch_execnz .LBB23_21
; %bb.18:                               ;   in Loop: Header=BB23_9 Depth=1
	s_wait_alu 0xfffe
	s_or_b32 exec_lo, exec_lo, s3
	s_and_saveexec_b32 s3, s0
	s_cbranch_execnz .LBB23_22
.LBB23_19:                              ;   in Loop: Header=BB23_9 Depth=1
	s_wait_alu 0xfffe
	s_or_b32 exec_lo, exec_lo, s3
	s_and_saveexec_b32 s0, s1
	s_cbranch_execnz .LBB23_23
.LBB23_20:                              ;   in Loop: Header=BB23_9 Depth=1
	s_wait_alu 0xfffe
	s_or_b32 exec_lo, exec_lo, s0
	s_and_saveexec_b32 s0, s2
	s_cbranch_execz .LBB23_8
	s_branch .LBB23_24
.LBB23_21:                              ;   in Loop: Header=BB23_9 Depth=1
	s_delay_alu instid0(VALU_DEP_1) | instskip(NEXT) | instid1(VALU_DEP_1)
	v_add_f32_e32 v25, v25, v28
	v_bfe_u32 v29, v25, 16, 1
	v_cmp_o_f32_e32 vcc_lo, v25, v25
	s_delay_alu instid0(VALU_DEP_2) | instskip(NEXT) | instid1(VALU_DEP_1)
	v_add3_u32 v29, v25, v29, 0x7fff
	v_lshrrev_b32_e32 v29, 16, v29
	s_wait_alu 0xfffd
	s_delay_alu instid0(VALU_DEP_1)
	v_cndmask_b32_e32 v25, 0x7fc0, v29, vcc_lo
	v_add_co_u32 v29, vcc_lo, v5, s8
	s_wait_alu 0xfffd
	v_add_co_ci_u32_e64 v30, null, s9, v6, vcc_lo
	global_store_b16 v[29:30], v25, off
	s_wait_alu 0xfffe
	s_or_b32 exec_lo, exec_lo, s3
	s_and_saveexec_b32 s3, s0
	s_cbranch_execz .LBB23_19
.LBB23_22:                              ;   in Loop: Header=BB23_9 Depth=1
	v_add_f32_e32 v25, v26, v28
	s_delay_alu instid0(VALU_DEP_1) | instskip(SKIP_1) | instid1(VALU_DEP_2)
	v_bfe_u32 v26, v25, 16, 1
	v_cmp_o_f32_e32 vcc_lo, v25, v25
	v_add3_u32 v26, v25, v26, 0x7fff
	s_delay_alu instid0(VALU_DEP_1) | instskip(SKIP_1) | instid1(VALU_DEP_1)
	v_lshrrev_b32_e32 v26, 16, v26
	s_wait_alu 0xfffd
	v_cndmask_b32_e32 v29, 0x7fc0, v26, vcc_lo
	v_add_co_u32 v25, vcc_lo, v22, s8
	s_wait_alu 0xfffd
	v_add_co_ci_u32_e64 v26, null, s9, v23, vcc_lo
	global_store_b16 v[25:26], v29, off
	s_wait_alu 0xfffe
	s_or_b32 exec_lo, exec_lo, s3
	s_and_saveexec_b32 s0, s1
	s_cbranch_execz .LBB23_20
.LBB23_23:                              ;   in Loop: Header=BB23_9 Depth=1
	v_add_f32_e32 v24, v24, v28
	s_delay_alu instid0(VALU_DEP_1) | instskip(SKIP_1) | instid1(VALU_DEP_2)
	v_bfe_u32 v25, v24, 16, 1
	v_cmp_o_f32_e32 vcc_lo, v24, v24
	v_add3_u32 v25, v24, v25, 0x7fff
	s_delay_alu instid0(VALU_DEP_1) | instskip(SKIP_1) | instid1(VALU_DEP_1)
	v_lshrrev_b32_e32 v25, 16, v25
	s_wait_alu 0xfffd
	v_cndmask_b32_e32 v26, 0x7fc0, v25, vcc_lo
	v_add_co_u32 v24, vcc_lo, v15, s8
	s_wait_alu 0xfffd
	v_add_co_ci_u32_e64 v25, null, s9, v16, vcc_lo
	global_store_b16 v[24:25], v26, off
	s_wait_alu 0xfffe
	s_or_b32 exec_lo, exec_lo, s0
	s_and_saveexec_b32 s0, s2
	s_cbranch_execz .LBB23_8
.LBB23_24:                              ;   in Loop: Header=BB23_9 Depth=1
	v_add_f32_e32 v24, v27, v28
	s_delay_alu instid0(VALU_DEP_1) | instskip(SKIP_1) | instid1(VALU_DEP_2)
	v_bfe_u32 v25, v24, 16, 1
	v_cmp_o_f32_e32 vcc_lo, v24, v24
	v_add3_u32 v25, v24, v25, 0x7fff
	s_delay_alu instid0(VALU_DEP_1) | instskip(SKIP_1) | instid1(VALU_DEP_1)
	v_lshrrev_b32_e32 v25, 16, v25
	s_wait_alu 0xfffd
	v_cndmask_b32_e32 v26, 0x7fc0, v25, vcc_lo
	v_add_co_u32 v24, vcc_lo, v9, s8
	s_wait_alu 0xfffd
	v_add_co_ci_u32_e64 v25, null, s9, v10, vcc_lo
	global_store_b16 v[24:25], v26, off
	s_branch .LBB23_8
.LBB23_25:
	s_endpgm
	.section	.rodata,"a",@progbits
	.p2align	6, 0x0
	.amdhsa_kernel _ZN2at6native12_GLOBAL__N_125multi_tensor_apply_kernelINS1_18TensorListMetadataILi2EEENS1_27BinaryOpScalarTensorFunctorIN3c108BFloat16ELi2ELi1ELi1EEEJSt4plusIfEPS7_fEEEvT_T0_DpT1_
		.amdhsa_group_segment_fixed_size 0
		.amdhsa_private_segment_fixed_size 0
		.amdhsa_kernarg_size 3424
		.amdhsa_user_sgpr_count 2
		.amdhsa_user_sgpr_dispatch_ptr 0
		.amdhsa_user_sgpr_queue_ptr 0
		.amdhsa_user_sgpr_kernarg_segment_ptr 1
		.amdhsa_user_sgpr_dispatch_id 0
		.amdhsa_user_sgpr_private_segment_size 0
		.amdhsa_wavefront_size32 1
		.amdhsa_uses_dynamic_stack 0
		.amdhsa_enable_private_segment 0
		.amdhsa_system_sgpr_workgroup_id_x 1
		.amdhsa_system_sgpr_workgroup_id_y 0
		.amdhsa_system_sgpr_workgroup_id_z 0
		.amdhsa_system_sgpr_workgroup_info 0
		.amdhsa_system_vgpr_workitem_id 0
		.amdhsa_next_free_vgpr 31
		.amdhsa_next_free_sgpr 24
		.amdhsa_reserve_vcc 1
		.amdhsa_float_round_mode_32 0
		.amdhsa_float_round_mode_16_64 0
		.amdhsa_float_denorm_mode_32 3
		.amdhsa_float_denorm_mode_16_64 3
		.amdhsa_fp16_overflow 0
		.amdhsa_workgroup_processor_mode 1
		.amdhsa_memory_ordered 1
		.amdhsa_forward_progress 1
		.amdhsa_inst_pref_size 17
		.amdhsa_round_robin_scheduling 0
		.amdhsa_exception_fp_ieee_invalid_op 0
		.amdhsa_exception_fp_denorm_src 0
		.amdhsa_exception_fp_ieee_div_zero 0
		.amdhsa_exception_fp_ieee_overflow 0
		.amdhsa_exception_fp_ieee_underflow 0
		.amdhsa_exception_fp_ieee_inexact 0
		.amdhsa_exception_int_div_zero 0
	.end_amdhsa_kernel
	.section	.text._ZN2at6native12_GLOBAL__N_125multi_tensor_apply_kernelINS1_18TensorListMetadataILi2EEENS1_27BinaryOpScalarTensorFunctorIN3c108BFloat16ELi2ELi1ELi1EEEJSt4plusIfEPS7_fEEEvT_T0_DpT1_,"axG",@progbits,_ZN2at6native12_GLOBAL__N_125multi_tensor_apply_kernelINS1_18TensorListMetadataILi2EEENS1_27BinaryOpScalarTensorFunctorIN3c108BFloat16ELi2ELi1ELi1EEEJSt4plusIfEPS7_fEEEvT_T0_DpT1_,comdat
.Lfunc_end23:
	.size	_ZN2at6native12_GLOBAL__N_125multi_tensor_apply_kernelINS1_18TensorListMetadataILi2EEENS1_27BinaryOpScalarTensorFunctorIN3c108BFloat16ELi2ELi1ELi1EEEJSt4plusIfEPS7_fEEEvT_T0_DpT1_, .Lfunc_end23-_ZN2at6native12_GLOBAL__N_125multi_tensor_apply_kernelINS1_18TensorListMetadataILi2EEENS1_27BinaryOpScalarTensorFunctorIN3c108BFloat16ELi2ELi1ELi1EEEJSt4plusIfEPS7_fEEEvT_T0_DpT1_
                                        ; -- End function
	.set _ZN2at6native12_GLOBAL__N_125multi_tensor_apply_kernelINS1_18TensorListMetadataILi2EEENS1_27BinaryOpScalarTensorFunctorIN3c108BFloat16ELi2ELi1ELi1EEEJSt4plusIfEPS7_fEEEvT_T0_DpT1_.num_vgpr, 31
	.set _ZN2at6native12_GLOBAL__N_125multi_tensor_apply_kernelINS1_18TensorListMetadataILi2EEENS1_27BinaryOpScalarTensorFunctorIN3c108BFloat16ELi2ELi1ELi1EEEJSt4plusIfEPS7_fEEEvT_T0_DpT1_.num_agpr, 0
	.set _ZN2at6native12_GLOBAL__N_125multi_tensor_apply_kernelINS1_18TensorListMetadataILi2EEENS1_27BinaryOpScalarTensorFunctorIN3c108BFloat16ELi2ELi1ELi1EEEJSt4plusIfEPS7_fEEEvT_T0_DpT1_.numbered_sgpr, 24
	.set _ZN2at6native12_GLOBAL__N_125multi_tensor_apply_kernelINS1_18TensorListMetadataILi2EEENS1_27BinaryOpScalarTensorFunctorIN3c108BFloat16ELi2ELi1ELi1EEEJSt4plusIfEPS7_fEEEvT_T0_DpT1_.num_named_barrier, 0
	.set _ZN2at6native12_GLOBAL__N_125multi_tensor_apply_kernelINS1_18TensorListMetadataILi2EEENS1_27BinaryOpScalarTensorFunctorIN3c108BFloat16ELi2ELi1ELi1EEEJSt4plusIfEPS7_fEEEvT_T0_DpT1_.private_seg_size, 0
	.set _ZN2at6native12_GLOBAL__N_125multi_tensor_apply_kernelINS1_18TensorListMetadataILi2EEENS1_27BinaryOpScalarTensorFunctorIN3c108BFloat16ELi2ELi1ELi1EEEJSt4plusIfEPS7_fEEEvT_T0_DpT1_.uses_vcc, 1
	.set _ZN2at6native12_GLOBAL__N_125multi_tensor_apply_kernelINS1_18TensorListMetadataILi2EEENS1_27BinaryOpScalarTensorFunctorIN3c108BFloat16ELi2ELi1ELi1EEEJSt4plusIfEPS7_fEEEvT_T0_DpT1_.uses_flat_scratch, 0
	.set _ZN2at6native12_GLOBAL__N_125multi_tensor_apply_kernelINS1_18TensorListMetadataILi2EEENS1_27BinaryOpScalarTensorFunctorIN3c108BFloat16ELi2ELi1ELi1EEEJSt4plusIfEPS7_fEEEvT_T0_DpT1_.has_dyn_sized_stack, 0
	.set _ZN2at6native12_GLOBAL__N_125multi_tensor_apply_kernelINS1_18TensorListMetadataILi2EEENS1_27BinaryOpScalarTensorFunctorIN3c108BFloat16ELi2ELi1ELi1EEEJSt4plusIfEPS7_fEEEvT_T0_DpT1_.has_recursion, 0
	.set _ZN2at6native12_GLOBAL__N_125multi_tensor_apply_kernelINS1_18TensorListMetadataILi2EEENS1_27BinaryOpScalarTensorFunctorIN3c108BFloat16ELi2ELi1ELi1EEEJSt4plusIfEPS7_fEEEvT_T0_DpT1_.has_indirect_call, 0
	.section	.AMDGPU.csdata,"",@progbits
; Kernel info:
; codeLenInByte = 2168
; TotalNumSgprs: 26
; NumVgprs: 31
; ScratchSize: 0
; MemoryBound: 0
; FloatMode: 240
; IeeeMode: 1
; LDSByteSize: 0 bytes/workgroup (compile time only)
; SGPRBlocks: 0
; VGPRBlocks: 3
; NumSGPRsForWavesPerEU: 26
; NumVGPRsForWavesPerEU: 31
; Occupancy: 16
; WaveLimiterHint : 0
; COMPUTE_PGM_RSRC2:SCRATCH_EN: 0
; COMPUTE_PGM_RSRC2:USER_SGPR: 2
; COMPUTE_PGM_RSRC2:TRAP_HANDLER: 0
; COMPUTE_PGM_RSRC2:TGID_X_EN: 1
; COMPUTE_PGM_RSRC2:TGID_Y_EN: 0
; COMPUTE_PGM_RSRC2:TGID_Z_EN: 0
; COMPUTE_PGM_RSRC2:TIDIG_COMP_CNT: 0
	.section	.text._ZN2at6native12_GLOBAL__N_125multi_tensor_apply_kernelINS1_18TensorListMetadataILi1EEENS1_27BinaryOpScalarTensorFunctorIhLi1ELi1ELi0EEEJSt10multipliesIhEPhhEEEvT_T0_DpT1_,"axG",@progbits,_ZN2at6native12_GLOBAL__N_125multi_tensor_apply_kernelINS1_18TensorListMetadataILi1EEENS1_27BinaryOpScalarTensorFunctorIhLi1ELi1ELi0EEEJSt10multipliesIhEPhhEEEvT_T0_DpT1_,comdat
	.globl	_ZN2at6native12_GLOBAL__N_125multi_tensor_apply_kernelINS1_18TensorListMetadataILi1EEENS1_27BinaryOpScalarTensorFunctorIhLi1ELi1ELi0EEEJSt10multipliesIhEPhhEEEvT_T0_DpT1_ ; -- Begin function _ZN2at6native12_GLOBAL__N_125multi_tensor_apply_kernelINS1_18TensorListMetadataILi1EEENS1_27BinaryOpScalarTensorFunctorIhLi1ELi1ELi0EEEJSt10multipliesIhEPhhEEEvT_T0_DpT1_
	.p2align	8
	.type	_ZN2at6native12_GLOBAL__N_125multi_tensor_apply_kernelINS1_18TensorListMetadataILi1EEENS1_27BinaryOpScalarTensorFunctorIhLi1ELi1ELi0EEEJSt10multipliesIhEPhhEEEvT_T0_DpT1_,@function
_ZN2at6native12_GLOBAL__N_125multi_tensor_apply_kernelINS1_18TensorListMetadataILi1EEENS1_27BinaryOpScalarTensorFunctorIhLi1ELi1ELi0EEEJSt10multipliesIhEPhhEEEvT_T0_DpT1_: ; @_ZN2at6native12_GLOBAL__N_125multi_tensor_apply_kernelINS1_18TensorListMetadataILi1EEENS1_27BinaryOpScalarTensorFunctorIhLi1ELi1ELi0EEEJSt10multipliesIhEPhhEEEvT_T0_DpT1_
; %bb.0:
	s_mov_b32 s2, ttmp9
	s_mov_b32 s3, 0
	s_delay_alu instid0(SALU_CYCLE_1) | instskip(SKIP_1) | instid1(SALU_CYCLE_1)
	s_mul_u64 s[4:5], s[2:3], 3
	s_add_nc_u64 s[2:3], s[0:1], s[2:3]
	s_add_nc_u64 s[2:3], s[2:3], s[4:5]
	s_clause 0x1
	s_load_b32 s2, s[2:3], 0x820
	s_load_u8 s3, s[0:1], ttmp9 offset:0x6e0
	s_wait_kmcnt 0x0
	s_lshl_b32 s3, s3, 3
	s_clause 0x2
	s_load_b64 s[4:5], s[0:1], s3 offset:0x370
	s_load_b64 s[6:7], s[0:1], s3 offset:0x0
	s_load_b96 s[8:10], s[0:1], 0xd30
	s_ashr_i32 s3, s2, 31
	s_delay_alu instid0(SALU_CYCLE_1) | instskip(SKIP_3) | instid1(SALU_CYCLE_1)
	s_lshl_b64 s[12:13], s[2:3], 16
	s_wait_kmcnt 0x0
	s_sub_nc_u64 s[14:15], s[4:5], s[12:13]
	s_or_b32 s11, s4, s6
	s_and_b32 s11, s11, 3
	s_delay_alu instid0(SALU_CYCLE_1)
	s_cmp_eq_u32 s11, 0
	s_cbranch_scc1 .LBB24_21
; %bb.1:
	v_cmp_lt_i64_e64 s2, s[14:15], 1
	s_and_b32 vcc_lo, exec_lo, s2
	s_cbranch_vccnz .LBB24_20
; %bb.2:
	s_load_b32 s2, s[0:1], 0xd4c
	v_cmp_gt_i64_e64 s4, 0x10000, s[14:15]
	s_mov_b32 s21, 0
	v_cmp_gt_u64_e64 s11, 0x10000, s[14:15]
	s_mov_b32 s5, s21
	v_add_co_u32 v12, s3, s12, v0
	s_and_b32 s4, s4, exec_lo
	s_cselect_b32 s17, s15, 0
	s_cselect_b32 s16, s14, 0x10000
	v_add_co_ci_u32_e64 v13, null, s13, 0, s3
	s_mov_b32 s3, s21
	v_add_co_u32 v2, vcc_lo, s6, v12
	s_delay_alu instid0(VALU_DEP_1)
	v_add_co_ci_u32_e64 v3, null, s7, v13, vcc_lo
	v_mov_b32_e32 v1, 0
	s_wait_kmcnt 0x0
	s_and_b32 s20, s2, 0xffff
	s_and_b32 s2, s11, exec_lo
	s_mul_i32 s4, s20, 3
	s_cselect_b32 s19, s15, 0
	s_add_nc_u64 s[22:23], s[12:13], s[4:5]
	s_cselect_b32 s18, s14, 0x10000
	s_add_nc_u64 s[22:23], s[6:7], s[22:23]
	s_lshl_b32 s2, s20, 1
	v_add_co_u32 v4, s5, s22, v0
	s_delay_alu instid0(VALU_DEP_1)
	v_add_co_ci_u32_e64 v5, null, s23, 0, s5
	s_wait_alu 0xfffe
	s_add_nc_u64 s[22:23], s[12:13], s[2:3]
	v_add_co_u32 v6, s3, s4, v0
	s_wait_alu 0xfffe
	s_add_nc_u64 s[4:5], s[6:7], s[22:23]
	v_add_co_ci_u32_e64 v7, null, 0, 0, s3
	s_wait_alu 0xfffe
	v_add_co_u32 v8, s3, s4, v0
	v_add_co_u32 v10, s2, s2, v0
	s_wait_alu 0xf1ff
	v_add_co_ci_u32_e64 v9, null, s5, 0, s3
	v_add_co_ci_u32_e64 v11, null, 0, 0, s2
	s_add_nc_u64 s[2:3], s[6:7], s[20:21]
	s_mov_b64 s[22:23], 0
	s_wait_alu 0xfffe
	v_add_co_u32 v12, vcc_lo, s2, v12
	v_add_co_u32 v14, s2, v0, s20
	s_wait_alu 0xfffd
	v_add_co_ci_u32_e64 v13, null, s3, v13, vcc_lo
	s_wait_alu 0xf1ff
	v_add_co_ci_u32_e64 v15, null, 0, 0, s2
	s_lshl_b32 s20, s20, 2
	s_branch .LBB24_4
.LBB24_3:                               ;   in Loop: Header=BB24_4 Depth=1
	s_wait_alu 0xfffe
	s_or_b32 exec_lo, exec_lo, s2
	s_add_nc_u64 s[22:23], s[22:23], s[20:21]
	s_wait_alu 0xfffe
	v_cmp_lt_i64_e64 s2, s[22:23], s[16:17]
	s_and_b32 vcc_lo, exec_lo, s2
	s_wait_alu 0xfffe
	s_cbranch_vccz .LBB24_20
.LBB24_4:                               ; =>This Inner Loop Header: Depth=1
	v_add_co_u32 v16, s2, v0, s22
	s_wait_alu 0xf1ff
	v_add_co_ci_u32_e64 v17, null, 0, s23, s2
	s_delay_alu instid0(VALU_DEP_1)
	v_cmp_gt_u64_e32 vcc_lo, s[18:19], v[16:17]
	v_mov_b32_e32 v16, 0
	s_and_saveexec_b32 s3, vcc_lo
	s_cbranch_execz .LBB24_6
; %bb.5:                                ;   in Loop: Header=BB24_4 Depth=1
	v_add_co_u32 v16, s2, v2, s22
	s_wait_alu 0xf1ff
	v_add_co_ci_u32_e64 v17, null, s23, v3, s2
	global_load_u8 v16, v[16:17], off
.LBB24_6:                               ;   in Loop: Header=BB24_4 Depth=1
	s_wait_alu 0xfffe
	s_or_b32 exec_lo, exec_lo, s3
	v_add_co_u32 v17, s2, v14, s22
	s_wait_alu 0xf1ff
	v_add_co_ci_u32_e64 v18, null, s23, v15, s2
	s_delay_alu instid0(VALU_DEP_1)
	v_cmp_gt_u64_e64 s2, s[18:19], v[17:18]
	v_dual_mov_b32 v17, 0 :: v_dual_mov_b32 v18, 0
	s_and_saveexec_b32 s4, s2
	s_cbranch_execz .LBB24_8
; %bb.7:                                ;   in Loop: Header=BB24_4 Depth=1
	v_add_co_u32 v18, s3, v12, s22
	s_wait_alu 0xf1ff
	v_add_co_ci_u32_e64 v19, null, s23, v13, s3
	global_load_u8 v18, v[18:19], off
.LBB24_8:                               ;   in Loop: Header=BB24_4 Depth=1
	s_wait_alu 0xfffe
	s_or_b32 exec_lo, exec_lo, s4
	v_add_co_u32 v19, s3, v10, s22
	s_wait_alu 0xf1ff
	v_add_co_ci_u32_e64 v20, null, s23, v11, s3
	s_delay_alu instid0(VALU_DEP_1)
	v_cmp_gt_u64_e64 s3, s[18:19], v[19:20]
	s_and_saveexec_b32 s5, s3
	s_cbranch_execz .LBB24_10
; %bb.9:                                ;   in Loop: Header=BB24_4 Depth=1
	v_add_co_u32 v19, s4, v8, s22
	s_wait_alu 0xf1ff
	v_add_co_ci_u32_e64 v20, null, s23, v9, s4
	global_load_u8 v17, v[19:20], off
.LBB24_10:                              ;   in Loop: Header=BB24_4 Depth=1
	s_wait_alu 0xfffe
	s_or_b32 exec_lo, exec_lo, s5
	v_add_co_u32 v19, s4, v6, s22
	s_wait_alu 0xf1ff
	v_add_co_ci_u32_e64 v20, null, s23, v7, s4
	s_delay_alu instid0(VALU_DEP_1)
	v_cmp_gt_u64_e64 s4, s[18:19], v[19:20]
	v_mov_b32_e32 v19, 0
	s_and_saveexec_b32 s11, s4
	s_cbranch_execz .LBB24_12
; %bb.11:                               ;   in Loop: Header=BB24_4 Depth=1
	v_add_co_u32 v19, s5, v4, s22
	s_wait_alu 0xf1ff
	v_add_co_ci_u32_e64 v20, null, s23, v5, s5
	global_load_u8 v19, v[19:20], off
.LBB24_12:                              ;   in Loop: Header=BB24_4 Depth=1
	s_wait_alu 0xfffe
	s_or_b32 exec_lo, exec_lo, s11
	global_load_u8 v20, v1, s[8:9]
	s_wait_loadcnt 0x0
	v_mul_lo_u32 v20, v20, s10
	s_delay_alu instid0(VALU_DEP_1) | instskip(SKIP_3) | instid1(VALU_DEP_4)
	v_mul_lo_u16 v18, v20, v18
	v_mul_lo_u16 v16, v20, v16
	;; [unrolled: 1-line block ×4, first 2 shown]
	v_lshlrev_b16 v18, 8, v18
	s_delay_alu instid0(VALU_DEP_4) | instskip(NEXT) | instid1(VALU_DEP_4)
	v_and_b32_e32 v16, 0xff, v16
	v_lshlrev_b16 v19, 8, v19
	s_delay_alu instid0(VALU_DEP_4) | instskip(NEXT) | instid1(VALU_DEP_3)
	v_and_b32_e32 v17, 0xff, v17
	v_or_b32_e32 v16, v16, v18
	s_delay_alu instid0(VALU_DEP_2) | instskip(NEXT) | instid1(VALU_DEP_2)
	v_or_b32_e32 v17, v17, v19
	v_and_b32_e32 v16, 0xffff, v16
	s_delay_alu instid0(VALU_DEP_2) | instskip(NEXT) | instid1(VALU_DEP_1)
	v_lshlrev_b32_e32 v17, 16, v17
	v_or_b32_e32 v16, v16, v17
	s_and_saveexec_b32 s5, vcc_lo
	s_cbranch_execnz .LBB24_16
; %bb.13:                               ;   in Loop: Header=BB24_4 Depth=1
	s_wait_alu 0xfffe
	s_or_b32 exec_lo, exec_lo, s5
	s_and_saveexec_b32 s5, s2
	s_cbranch_execnz .LBB24_17
.LBB24_14:                              ;   in Loop: Header=BB24_4 Depth=1
	s_wait_alu 0xfffe
	s_or_b32 exec_lo, exec_lo, s5
	s_and_saveexec_b32 s2, s3
	s_cbranch_execnz .LBB24_18
.LBB24_15:                              ;   in Loop: Header=BB24_4 Depth=1
	s_wait_alu 0xfffe
	s_or_b32 exec_lo, exec_lo, s2
	s_and_saveexec_b32 s2, s4
	s_cbranch_execz .LBB24_3
	s_branch .LBB24_19
.LBB24_16:                              ;   in Loop: Header=BB24_4 Depth=1
	v_add_co_u32 v17, vcc_lo, v2, s22
	s_wait_alu 0xfffd
	v_add_co_ci_u32_e64 v18, null, s23, v3, vcc_lo
	global_store_b8 v[17:18], v16, off
	s_wait_alu 0xfffe
	s_or_b32 exec_lo, exec_lo, s5
	s_and_saveexec_b32 s5, s2
	s_cbranch_execz .LBB24_14
.LBB24_17:                              ;   in Loop: Header=BB24_4 Depth=1
	v_add_co_u32 v17, vcc_lo, v12, s22
	s_wait_alu 0xfffd
	v_add_co_ci_u32_e64 v18, null, s23, v13, vcc_lo
	v_lshrrev_b32_e32 v19, 8, v16
	global_store_b8 v[17:18], v19, off
	s_wait_alu 0xfffe
	s_or_b32 exec_lo, exec_lo, s5
	s_and_saveexec_b32 s2, s3
	s_cbranch_execz .LBB24_15
.LBB24_18:                              ;   in Loop: Header=BB24_4 Depth=1
	v_add_co_u32 v17, vcc_lo, v8, s22
	s_wait_alu 0xfffd
	v_add_co_ci_u32_e64 v18, null, s23, v9, vcc_lo
	global_store_d16_hi_b8 v[17:18], v16, off
	s_wait_alu 0xfffe
	s_or_b32 exec_lo, exec_lo, s2
	s_and_saveexec_b32 s2, s4
	s_cbranch_execz .LBB24_3
.LBB24_19:                              ;   in Loop: Header=BB24_4 Depth=1
	v_add_co_u32 v17, vcc_lo, v4, s22
	s_wait_alu 0xfffd
	v_add_co_ci_u32_e64 v18, null, s23, v5, vcc_lo
	v_lshrrev_b32_e32 v16, 24, v16
	global_store_b8 v[17:18], v16, off
	s_branch .LBB24_3
.LBB24_20:
	s_cbranch_execz .LBB24_22
	s_branch .LBB24_25
.LBB24_21:
.LBB24_22:
	v_cmp_gt_i64_e64 s2, 0x10000, s[14:15]
	v_dual_mov_b32 v3, 0 :: v_dual_lshlrev_b32 v2, 2, v0
	s_mov_b32 s4, 0
	s_mov_b32 s5, exec_lo
	s_and_b32 s2, s2, exec_lo
	s_cselect_b32 s3, s15, 0
	s_cselect_b32 s2, s14, 0x10000
	s_wait_alu 0xfffe
	v_cmpx_gt_i64_e64 s[2:3], v[2:3]
	s_cbranch_execz .LBB24_25
; %bb.23:
	s_load_b32 s5, s[0:1], 0xd4c
	s_add_nc_u64 s[0:1], s[6:7], s[12:13]
	v_mov_b32_e32 v1, v3
	v_add_co_u32 v4, s0, s0, v2
	s_wait_alu 0xf1ff
	v_add_co_ci_u32_e64 v5, null, s1, 0, s0
	s_wait_kmcnt 0x0
	s_and_b32 s1, s5, 0xffff
	s_wait_alu 0xfffe
	s_lshl_b32 s5, s1, 2
.LBB24_24:                              ; =>This Inner Loop Header: Depth=1
	global_load_u8 v2, v3, s[8:9]
	global_load_b32 v8, v[4:5], off
	v_add_co_u32 v0, vcc_lo, v0, s1
	s_wait_alu 0xfffd
	v_add_co_ci_u32_e64 v1, null, 0, v1, vcc_lo
	s_delay_alu instid0(VALU_DEP_1) | instskip(NEXT) | instid1(VALU_DEP_1)
	v_lshlrev_b64_e32 v[6:7], 2, v[0:1]
	v_cmp_le_i64_e32 vcc_lo, s[2:3], v[6:7]
	s_or_b32 s4, vcc_lo, s4
	s_wait_loadcnt 0x1
	v_mul_lo_u32 v2, v2, s10
	s_wait_loadcnt 0x0
	v_lshrrev_b32_e32 v6, 24, v8
	v_lshrrev_b32_e32 v7, 16, v8
	v_lshrrev_b16 v9, 8, v8
	s_delay_alu instid0(VALU_DEP_3) | instskip(NEXT) | instid1(VALU_DEP_3)
	v_mul_lo_u16 v6, v2, v6
	v_mul_lo_u16 v7, v2, v7
	s_delay_alu instid0(VALU_DEP_3) | instskip(SKIP_1) | instid1(VALU_DEP_4)
	v_mul_lo_u16 v9, v2, v9
	v_mul_lo_u16 v2, v2, v8
	v_lshlrev_b16 v6, 8, v6
	s_delay_alu instid0(VALU_DEP_4) | instskip(NEXT) | instid1(VALU_DEP_4)
	v_and_b32_e32 v7, 0xff, v7
	v_lshlrev_b16 v8, 8, v9
	s_delay_alu instid0(VALU_DEP_4) | instskip(NEXT) | instid1(VALU_DEP_3)
	v_and_b32_e32 v2, 0xff, v2
	v_or_b32_e32 v6, v7, v6
	s_delay_alu instid0(VALU_DEP_2) | instskip(NEXT) | instid1(VALU_DEP_2)
	v_or_b32_e32 v2, v2, v8
	v_lshlrev_b32_e32 v6, 16, v6
	s_delay_alu instid0(VALU_DEP_2) | instskip(NEXT) | instid1(VALU_DEP_1)
	v_and_b32_e32 v2, 0xffff, v2
	v_or_b32_e32 v2, v2, v6
	global_store_b32 v[4:5], v2, off
	s_wait_alu 0xfffe
	v_add_co_u32 v4, s0, v4, s5
	s_wait_alu 0xf1ff
	v_add_co_ci_u32_e64 v5, null, 0, v5, s0
	s_and_not1_b32 exec_lo, exec_lo, s4
	s_cbranch_execnz .LBB24_24
.LBB24_25:
	s_endpgm
	.section	.rodata,"a",@progbits
	.p2align	6, 0x0
	.amdhsa_kernel _ZN2at6native12_GLOBAL__N_125multi_tensor_apply_kernelINS1_18TensorListMetadataILi1EEENS1_27BinaryOpScalarTensorFunctorIhLi1ELi1ELi0EEEJSt10multipliesIhEPhhEEEvT_T0_DpT1_
		.amdhsa_group_segment_fixed_size 0
		.amdhsa_private_segment_fixed_size 0
		.amdhsa_kernarg_size 3648
		.amdhsa_user_sgpr_count 2
		.amdhsa_user_sgpr_dispatch_ptr 0
		.amdhsa_user_sgpr_queue_ptr 0
		.amdhsa_user_sgpr_kernarg_segment_ptr 1
		.amdhsa_user_sgpr_dispatch_id 0
		.amdhsa_user_sgpr_private_segment_size 0
		.amdhsa_wavefront_size32 1
		.amdhsa_uses_dynamic_stack 0
		.amdhsa_enable_private_segment 0
		.amdhsa_system_sgpr_workgroup_id_x 1
		.amdhsa_system_sgpr_workgroup_id_y 0
		.amdhsa_system_sgpr_workgroup_id_z 0
		.amdhsa_system_sgpr_workgroup_info 0
		.amdhsa_system_vgpr_workitem_id 0
		.amdhsa_next_free_vgpr 21
		.amdhsa_next_free_sgpr 24
		.amdhsa_reserve_vcc 1
		.amdhsa_float_round_mode_32 0
		.amdhsa_float_round_mode_16_64 0
		.amdhsa_float_denorm_mode_32 3
		.amdhsa_float_denorm_mode_16_64 3
		.amdhsa_fp16_overflow 0
		.amdhsa_workgroup_processor_mode 1
		.amdhsa_memory_ordered 1
		.amdhsa_forward_progress 1
		.amdhsa_inst_pref_size 13
		.amdhsa_round_robin_scheduling 0
		.amdhsa_exception_fp_ieee_invalid_op 0
		.amdhsa_exception_fp_denorm_src 0
		.amdhsa_exception_fp_ieee_div_zero 0
		.amdhsa_exception_fp_ieee_overflow 0
		.amdhsa_exception_fp_ieee_underflow 0
		.amdhsa_exception_fp_ieee_inexact 0
		.amdhsa_exception_int_div_zero 0
	.end_amdhsa_kernel
	.section	.text._ZN2at6native12_GLOBAL__N_125multi_tensor_apply_kernelINS1_18TensorListMetadataILi1EEENS1_27BinaryOpScalarTensorFunctorIhLi1ELi1ELi0EEEJSt10multipliesIhEPhhEEEvT_T0_DpT1_,"axG",@progbits,_ZN2at6native12_GLOBAL__N_125multi_tensor_apply_kernelINS1_18TensorListMetadataILi1EEENS1_27BinaryOpScalarTensorFunctorIhLi1ELi1ELi0EEEJSt10multipliesIhEPhhEEEvT_T0_DpT1_,comdat
.Lfunc_end24:
	.size	_ZN2at6native12_GLOBAL__N_125multi_tensor_apply_kernelINS1_18TensorListMetadataILi1EEENS1_27BinaryOpScalarTensorFunctorIhLi1ELi1ELi0EEEJSt10multipliesIhEPhhEEEvT_T0_DpT1_, .Lfunc_end24-_ZN2at6native12_GLOBAL__N_125multi_tensor_apply_kernelINS1_18TensorListMetadataILi1EEENS1_27BinaryOpScalarTensorFunctorIhLi1ELi1ELi0EEEJSt10multipliesIhEPhhEEEvT_T0_DpT1_
                                        ; -- End function
	.set _ZN2at6native12_GLOBAL__N_125multi_tensor_apply_kernelINS1_18TensorListMetadataILi1EEENS1_27BinaryOpScalarTensorFunctorIhLi1ELi1ELi0EEEJSt10multipliesIhEPhhEEEvT_T0_DpT1_.num_vgpr, 21
	.set _ZN2at6native12_GLOBAL__N_125multi_tensor_apply_kernelINS1_18TensorListMetadataILi1EEENS1_27BinaryOpScalarTensorFunctorIhLi1ELi1ELi0EEEJSt10multipliesIhEPhhEEEvT_T0_DpT1_.num_agpr, 0
	.set _ZN2at6native12_GLOBAL__N_125multi_tensor_apply_kernelINS1_18TensorListMetadataILi1EEENS1_27BinaryOpScalarTensorFunctorIhLi1ELi1ELi0EEEJSt10multipliesIhEPhhEEEvT_T0_DpT1_.numbered_sgpr, 24
	.set _ZN2at6native12_GLOBAL__N_125multi_tensor_apply_kernelINS1_18TensorListMetadataILi1EEENS1_27BinaryOpScalarTensorFunctorIhLi1ELi1ELi0EEEJSt10multipliesIhEPhhEEEvT_T0_DpT1_.num_named_barrier, 0
	.set _ZN2at6native12_GLOBAL__N_125multi_tensor_apply_kernelINS1_18TensorListMetadataILi1EEENS1_27BinaryOpScalarTensorFunctorIhLi1ELi1ELi0EEEJSt10multipliesIhEPhhEEEvT_T0_DpT1_.private_seg_size, 0
	.set _ZN2at6native12_GLOBAL__N_125multi_tensor_apply_kernelINS1_18TensorListMetadataILi1EEENS1_27BinaryOpScalarTensorFunctorIhLi1ELi1ELi0EEEJSt10multipliesIhEPhhEEEvT_T0_DpT1_.uses_vcc, 1
	.set _ZN2at6native12_GLOBAL__N_125multi_tensor_apply_kernelINS1_18TensorListMetadataILi1EEENS1_27BinaryOpScalarTensorFunctorIhLi1ELi1ELi0EEEJSt10multipliesIhEPhhEEEvT_T0_DpT1_.uses_flat_scratch, 0
	.set _ZN2at6native12_GLOBAL__N_125multi_tensor_apply_kernelINS1_18TensorListMetadataILi1EEENS1_27BinaryOpScalarTensorFunctorIhLi1ELi1ELi0EEEJSt10multipliesIhEPhhEEEvT_T0_DpT1_.has_dyn_sized_stack, 0
	.set _ZN2at6native12_GLOBAL__N_125multi_tensor_apply_kernelINS1_18TensorListMetadataILi1EEENS1_27BinaryOpScalarTensorFunctorIhLi1ELi1ELi0EEEJSt10multipliesIhEPhhEEEvT_T0_DpT1_.has_recursion, 0
	.set _ZN2at6native12_GLOBAL__N_125multi_tensor_apply_kernelINS1_18TensorListMetadataILi1EEENS1_27BinaryOpScalarTensorFunctorIhLi1ELi1ELi0EEEJSt10multipliesIhEPhhEEEvT_T0_DpT1_.has_indirect_call, 0
	.section	.AMDGPU.csdata,"",@progbits
; Kernel info:
; codeLenInByte = 1556
; TotalNumSgprs: 26
; NumVgprs: 21
; ScratchSize: 0
; MemoryBound: 0
; FloatMode: 240
; IeeeMode: 1
; LDSByteSize: 0 bytes/workgroup (compile time only)
; SGPRBlocks: 0
; VGPRBlocks: 2
; NumSGPRsForWavesPerEU: 26
; NumVGPRsForWavesPerEU: 21
; Occupancy: 16
; WaveLimiterHint : 0
; COMPUTE_PGM_RSRC2:SCRATCH_EN: 0
; COMPUTE_PGM_RSRC2:USER_SGPR: 2
; COMPUTE_PGM_RSRC2:TRAP_HANDLER: 0
; COMPUTE_PGM_RSRC2:TGID_X_EN: 1
; COMPUTE_PGM_RSRC2:TGID_Y_EN: 0
; COMPUTE_PGM_RSRC2:TGID_Z_EN: 0
; COMPUTE_PGM_RSRC2:TIDIG_COMP_CNT: 0
	.section	.text._ZN2at6native12_GLOBAL__N_125multi_tensor_apply_kernelINS1_18TensorListMetadataILi1EEENS1_27BinaryOpScalarTensorFunctorIaLi1ELi1ELi0EEEJSt10multipliesIaEPaaEEEvT_T0_DpT1_,"axG",@progbits,_ZN2at6native12_GLOBAL__N_125multi_tensor_apply_kernelINS1_18TensorListMetadataILi1EEENS1_27BinaryOpScalarTensorFunctorIaLi1ELi1ELi0EEEJSt10multipliesIaEPaaEEEvT_T0_DpT1_,comdat
	.globl	_ZN2at6native12_GLOBAL__N_125multi_tensor_apply_kernelINS1_18TensorListMetadataILi1EEENS1_27BinaryOpScalarTensorFunctorIaLi1ELi1ELi0EEEJSt10multipliesIaEPaaEEEvT_T0_DpT1_ ; -- Begin function _ZN2at6native12_GLOBAL__N_125multi_tensor_apply_kernelINS1_18TensorListMetadataILi1EEENS1_27BinaryOpScalarTensorFunctorIaLi1ELi1ELi0EEEJSt10multipliesIaEPaaEEEvT_T0_DpT1_
	.p2align	8
	.type	_ZN2at6native12_GLOBAL__N_125multi_tensor_apply_kernelINS1_18TensorListMetadataILi1EEENS1_27BinaryOpScalarTensorFunctorIaLi1ELi1ELi0EEEJSt10multipliesIaEPaaEEEvT_T0_DpT1_,@function
_ZN2at6native12_GLOBAL__N_125multi_tensor_apply_kernelINS1_18TensorListMetadataILi1EEENS1_27BinaryOpScalarTensorFunctorIaLi1ELi1ELi0EEEJSt10multipliesIaEPaaEEEvT_T0_DpT1_: ; @_ZN2at6native12_GLOBAL__N_125multi_tensor_apply_kernelINS1_18TensorListMetadataILi1EEENS1_27BinaryOpScalarTensorFunctorIaLi1ELi1ELi0EEEJSt10multipliesIaEPaaEEEvT_T0_DpT1_
; %bb.0:
	s_mov_b32 s2, ttmp9
	s_mov_b32 s3, 0
	s_delay_alu instid0(SALU_CYCLE_1) | instskip(SKIP_1) | instid1(SALU_CYCLE_1)
	s_mul_u64 s[4:5], s[2:3], 3
	s_add_nc_u64 s[2:3], s[0:1], s[2:3]
	s_add_nc_u64 s[2:3], s[2:3], s[4:5]
	s_clause 0x1
	s_load_b32 s2, s[2:3], 0x820
	s_load_u8 s3, s[0:1], ttmp9 offset:0x6e0
	s_wait_kmcnt 0x0
	s_lshl_b32 s3, s3, 3
	s_clause 0x2
	s_load_b64 s[4:5], s[0:1], s3 offset:0x370
	s_load_b64 s[6:7], s[0:1], s3 offset:0x0
	s_load_b96 s[8:10], s[0:1], 0xd30
	s_ashr_i32 s3, s2, 31
	s_delay_alu instid0(SALU_CYCLE_1) | instskip(SKIP_3) | instid1(SALU_CYCLE_1)
	s_lshl_b64 s[12:13], s[2:3], 16
	s_wait_kmcnt 0x0
	s_sub_nc_u64 s[14:15], s[4:5], s[12:13]
	s_or_b32 s11, s4, s6
	s_and_b32 s11, s11, 3
	s_delay_alu instid0(SALU_CYCLE_1)
	s_cmp_eq_u32 s11, 0
	s_cbranch_scc1 .LBB25_21
; %bb.1:
	v_cmp_lt_i64_e64 s2, s[14:15], 1
	s_and_b32 vcc_lo, exec_lo, s2
	s_cbranch_vccnz .LBB25_20
; %bb.2:
	s_load_b32 s2, s[0:1], 0xd4c
	v_cmp_gt_i64_e64 s4, 0x10000, s[14:15]
	s_mov_b32 s21, 0
	v_cmp_gt_u64_e64 s11, 0x10000, s[14:15]
	s_mov_b32 s5, s21
	v_add_co_u32 v12, s3, s12, v0
	s_and_b32 s4, s4, exec_lo
	s_cselect_b32 s17, s15, 0
	s_cselect_b32 s16, s14, 0x10000
	v_add_co_ci_u32_e64 v13, null, s13, 0, s3
	s_mov_b32 s3, s21
	v_add_co_u32 v2, vcc_lo, s6, v12
	s_delay_alu instid0(VALU_DEP_1)
	v_add_co_ci_u32_e64 v3, null, s7, v13, vcc_lo
	v_mov_b32_e32 v1, 0
	s_wait_kmcnt 0x0
	s_and_b32 s20, s2, 0xffff
	s_and_b32 s2, s11, exec_lo
	s_mul_i32 s4, s20, 3
	s_cselect_b32 s19, s15, 0
	s_add_nc_u64 s[22:23], s[12:13], s[4:5]
	s_cselect_b32 s18, s14, 0x10000
	s_add_nc_u64 s[22:23], s[6:7], s[22:23]
	s_lshl_b32 s2, s20, 1
	v_add_co_u32 v4, s5, s22, v0
	s_delay_alu instid0(VALU_DEP_1)
	v_add_co_ci_u32_e64 v5, null, s23, 0, s5
	s_wait_alu 0xfffe
	s_add_nc_u64 s[22:23], s[12:13], s[2:3]
	v_add_co_u32 v6, s3, s4, v0
	s_wait_alu 0xfffe
	s_add_nc_u64 s[4:5], s[6:7], s[22:23]
	v_add_co_ci_u32_e64 v7, null, 0, 0, s3
	s_wait_alu 0xfffe
	v_add_co_u32 v8, s3, s4, v0
	v_add_co_u32 v10, s2, s2, v0
	s_wait_alu 0xf1ff
	v_add_co_ci_u32_e64 v9, null, s5, 0, s3
	v_add_co_ci_u32_e64 v11, null, 0, 0, s2
	s_add_nc_u64 s[2:3], s[6:7], s[20:21]
	s_mov_b64 s[22:23], 0
	s_wait_alu 0xfffe
	v_add_co_u32 v12, vcc_lo, s2, v12
	v_add_co_u32 v14, s2, v0, s20
	s_wait_alu 0xfffd
	v_add_co_ci_u32_e64 v13, null, s3, v13, vcc_lo
	s_wait_alu 0xf1ff
	v_add_co_ci_u32_e64 v15, null, 0, 0, s2
	s_lshl_b32 s20, s20, 2
	s_branch .LBB25_4
.LBB25_3:                               ;   in Loop: Header=BB25_4 Depth=1
	s_wait_alu 0xfffe
	s_or_b32 exec_lo, exec_lo, s2
	s_add_nc_u64 s[22:23], s[22:23], s[20:21]
	s_wait_alu 0xfffe
	v_cmp_lt_i64_e64 s2, s[22:23], s[16:17]
	s_and_b32 vcc_lo, exec_lo, s2
	s_wait_alu 0xfffe
	s_cbranch_vccz .LBB25_20
.LBB25_4:                               ; =>This Inner Loop Header: Depth=1
	v_add_co_u32 v16, s2, v0, s22
	s_wait_alu 0xf1ff
	v_add_co_ci_u32_e64 v17, null, 0, s23, s2
	s_delay_alu instid0(VALU_DEP_1)
	v_cmp_gt_u64_e32 vcc_lo, s[18:19], v[16:17]
	v_mov_b32_e32 v16, 0
	s_and_saveexec_b32 s3, vcc_lo
	s_cbranch_execz .LBB25_6
; %bb.5:                                ;   in Loop: Header=BB25_4 Depth=1
	v_add_co_u32 v16, s2, v2, s22
	s_wait_alu 0xf1ff
	v_add_co_ci_u32_e64 v17, null, s23, v3, s2
	global_load_u8 v16, v[16:17], off
.LBB25_6:                               ;   in Loop: Header=BB25_4 Depth=1
	s_wait_alu 0xfffe
	s_or_b32 exec_lo, exec_lo, s3
	v_add_co_u32 v17, s2, v14, s22
	s_wait_alu 0xf1ff
	v_add_co_ci_u32_e64 v18, null, s23, v15, s2
	s_delay_alu instid0(VALU_DEP_1)
	v_cmp_gt_u64_e64 s2, s[18:19], v[17:18]
	v_dual_mov_b32 v17, 0 :: v_dual_mov_b32 v18, 0
	s_and_saveexec_b32 s4, s2
	s_cbranch_execz .LBB25_8
; %bb.7:                                ;   in Loop: Header=BB25_4 Depth=1
	v_add_co_u32 v18, s3, v12, s22
	s_wait_alu 0xf1ff
	v_add_co_ci_u32_e64 v19, null, s23, v13, s3
	global_load_u8 v18, v[18:19], off
.LBB25_8:                               ;   in Loop: Header=BB25_4 Depth=1
	s_wait_alu 0xfffe
	s_or_b32 exec_lo, exec_lo, s4
	v_add_co_u32 v19, s3, v10, s22
	s_wait_alu 0xf1ff
	v_add_co_ci_u32_e64 v20, null, s23, v11, s3
	s_delay_alu instid0(VALU_DEP_1)
	v_cmp_gt_u64_e64 s3, s[18:19], v[19:20]
	s_and_saveexec_b32 s5, s3
	s_cbranch_execz .LBB25_10
; %bb.9:                                ;   in Loop: Header=BB25_4 Depth=1
	v_add_co_u32 v19, s4, v8, s22
	s_wait_alu 0xf1ff
	v_add_co_ci_u32_e64 v20, null, s23, v9, s4
	global_load_u8 v17, v[19:20], off
.LBB25_10:                              ;   in Loop: Header=BB25_4 Depth=1
	s_wait_alu 0xfffe
	s_or_b32 exec_lo, exec_lo, s5
	v_add_co_u32 v19, s4, v6, s22
	s_wait_alu 0xf1ff
	v_add_co_ci_u32_e64 v20, null, s23, v7, s4
	s_delay_alu instid0(VALU_DEP_1)
	v_cmp_gt_u64_e64 s4, s[18:19], v[19:20]
	v_mov_b32_e32 v19, 0
	s_and_saveexec_b32 s11, s4
	s_cbranch_execz .LBB25_12
; %bb.11:                               ;   in Loop: Header=BB25_4 Depth=1
	v_add_co_u32 v19, s5, v4, s22
	s_wait_alu 0xf1ff
	v_add_co_ci_u32_e64 v20, null, s23, v5, s5
	global_load_u8 v19, v[19:20], off
.LBB25_12:                              ;   in Loop: Header=BB25_4 Depth=1
	s_wait_alu 0xfffe
	s_or_b32 exec_lo, exec_lo, s11
	global_load_u8 v20, v1, s[8:9]
	s_wait_loadcnt 0x0
	v_mul_lo_u32 v20, v20, s10
	s_delay_alu instid0(VALU_DEP_1) | instskip(SKIP_3) | instid1(VALU_DEP_4)
	v_mul_lo_u16 v18, v20, v18
	v_mul_lo_u16 v16, v20, v16
	;; [unrolled: 1-line block ×4, first 2 shown]
	v_lshlrev_b16 v18, 8, v18
	s_delay_alu instid0(VALU_DEP_4) | instskip(NEXT) | instid1(VALU_DEP_4)
	v_and_b32_e32 v16, 0xff, v16
	v_lshlrev_b16 v19, 8, v19
	s_delay_alu instid0(VALU_DEP_4) | instskip(NEXT) | instid1(VALU_DEP_3)
	v_and_b32_e32 v17, 0xff, v17
	v_or_b32_e32 v16, v16, v18
	s_delay_alu instid0(VALU_DEP_2) | instskip(NEXT) | instid1(VALU_DEP_2)
	v_or_b32_e32 v17, v17, v19
	v_and_b32_e32 v16, 0xffff, v16
	s_delay_alu instid0(VALU_DEP_2) | instskip(NEXT) | instid1(VALU_DEP_1)
	v_lshlrev_b32_e32 v17, 16, v17
	v_or_b32_e32 v16, v16, v17
	s_and_saveexec_b32 s5, vcc_lo
	s_cbranch_execnz .LBB25_16
; %bb.13:                               ;   in Loop: Header=BB25_4 Depth=1
	s_wait_alu 0xfffe
	s_or_b32 exec_lo, exec_lo, s5
	s_and_saveexec_b32 s5, s2
	s_cbranch_execnz .LBB25_17
.LBB25_14:                              ;   in Loop: Header=BB25_4 Depth=1
	s_wait_alu 0xfffe
	s_or_b32 exec_lo, exec_lo, s5
	s_and_saveexec_b32 s2, s3
	s_cbranch_execnz .LBB25_18
.LBB25_15:                              ;   in Loop: Header=BB25_4 Depth=1
	s_wait_alu 0xfffe
	s_or_b32 exec_lo, exec_lo, s2
	s_and_saveexec_b32 s2, s4
	s_cbranch_execz .LBB25_3
	s_branch .LBB25_19
.LBB25_16:                              ;   in Loop: Header=BB25_4 Depth=1
	v_add_co_u32 v17, vcc_lo, v2, s22
	s_wait_alu 0xfffd
	v_add_co_ci_u32_e64 v18, null, s23, v3, vcc_lo
	global_store_b8 v[17:18], v16, off
	s_wait_alu 0xfffe
	s_or_b32 exec_lo, exec_lo, s5
	s_and_saveexec_b32 s5, s2
	s_cbranch_execz .LBB25_14
.LBB25_17:                              ;   in Loop: Header=BB25_4 Depth=1
	v_add_co_u32 v17, vcc_lo, v12, s22
	s_wait_alu 0xfffd
	v_add_co_ci_u32_e64 v18, null, s23, v13, vcc_lo
	v_lshrrev_b32_e32 v19, 8, v16
	global_store_b8 v[17:18], v19, off
	s_wait_alu 0xfffe
	s_or_b32 exec_lo, exec_lo, s5
	s_and_saveexec_b32 s2, s3
	s_cbranch_execz .LBB25_15
.LBB25_18:                              ;   in Loop: Header=BB25_4 Depth=1
	v_add_co_u32 v17, vcc_lo, v8, s22
	s_wait_alu 0xfffd
	v_add_co_ci_u32_e64 v18, null, s23, v9, vcc_lo
	global_store_d16_hi_b8 v[17:18], v16, off
	s_wait_alu 0xfffe
	s_or_b32 exec_lo, exec_lo, s2
	s_and_saveexec_b32 s2, s4
	s_cbranch_execz .LBB25_3
.LBB25_19:                              ;   in Loop: Header=BB25_4 Depth=1
	v_add_co_u32 v17, vcc_lo, v4, s22
	s_wait_alu 0xfffd
	v_add_co_ci_u32_e64 v18, null, s23, v5, vcc_lo
	v_lshrrev_b32_e32 v16, 24, v16
	global_store_b8 v[17:18], v16, off
	s_branch .LBB25_3
.LBB25_20:
	s_cbranch_execz .LBB25_22
	s_branch .LBB25_25
.LBB25_21:
.LBB25_22:
	v_cmp_gt_i64_e64 s2, 0x10000, s[14:15]
	v_dual_mov_b32 v3, 0 :: v_dual_lshlrev_b32 v2, 2, v0
	s_mov_b32 s4, 0
	s_mov_b32 s5, exec_lo
	s_and_b32 s2, s2, exec_lo
	s_cselect_b32 s3, s15, 0
	s_cselect_b32 s2, s14, 0x10000
	s_wait_alu 0xfffe
	v_cmpx_gt_i64_e64 s[2:3], v[2:3]
	s_cbranch_execz .LBB25_25
; %bb.23:
	s_load_b32 s5, s[0:1], 0xd4c
	s_add_nc_u64 s[0:1], s[6:7], s[12:13]
	v_mov_b32_e32 v1, v3
	v_add_co_u32 v4, s0, s0, v2
	s_wait_alu 0xf1ff
	v_add_co_ci_u32_e64 v5, null, s1, 0, s0
	s_wait_kmcnt 0x0
	s_and_b32 s1, s5, 0xffff
	s_wait_alu 0xfffe
	s_lshl_b32 s5, s1, 2
.LBB25_24:                              ; =>This Inner Loop Header: Depth=1
	global_load_u8 v2, v3, s[8:9]
	global_load_b32 v8, v[4:5], off
	v_add_co_u32 v0, vcc_lo, v0, s1
	s_wait_alu 0xfffd
	v_add_co_ci_u32_e64 v1, null, 0, v1, vcc_lo
	s_delay_alu instid0(VALU_DEP_1) | instskip(NEXT) | instid1(VALU_DEP_1)
	v_lshlrev_b64_e32 v[6:7], 2, v[0:1]
	v_cmp_le_i64_e32 vcc_lo, s[2:3], v[6:7]
	s_or_b32 s4, vcc_lo, s4
	s_wait_loadcnt 0x1
	v_mul_lo_u32 v2, v2, s10
	s_wait_loadcnt 0x0
	v_lshrrev_b32_e32 v6, 24, v8
	v_lshrrev_b32_e32 v7, 16, v8
	v_lshrrev_b16 v9, 8, v8
	s_delay_alu instid0(VALU_DEP_3) | instskip(NEXT) | instid1(VALU_DEP_3)
	v_mul_lo_u16 v6, v2, v6
	v_mul_lo_u16 v7, v2, v7
	s_delay_alu instid0(VALU_DEP_3) | instskip(SKIP_1) | instid1(VALU_DEP_4)
	v_mul_lo_u16 v9, v2, v9
	v_mul_lo_u16 v2, v2, v8
	v_lshlrev_b16 v6, 8, v6
	s_delay_alu instid0(VALU_DEP_4) | instskip(NEXT) | instid1(VALU_DEP_4)
	v_and_b32_e32 v7, 0xff, v7
	v_lshlrev_b16 v8, 8, v9
	s_delay_alu instid0(VALU_DEP_4) | instskip(NEXT) | instid1(VALU_DEP_3)
	v_and_b32_e32 v2, 0xff, v2
	v_or_b32_e32 v6, v7, v6
	s_delay_alu instid0(VALU_DEP_2) | instskip(NEXT) | instid1(VALU_DEP_2)
	v_or_b32_e32 v2, v2, v8
	v_lshlrev_b32_e32 v6, 16, v6
	s_delay_alu instid0(VALU_DEP_2) | instskip(NEXT) | instid1(VALU_DEP_1)
	v_and_b32_e32 v2, 0xffff, v2
	v_or_b32_e32 v2, v2, v6
	global_store_b32 v[4:5], v2, off
	s_wait_alu 0xfffe
	v_add_co_u32 v4, s0, v4, s5
	s_wait_alu 0xf1ff
	v_add_co_ci_u32_e64 v5, null, 0, v5, s0
	s_and_not1_b32 exec_lo, exec_lo, s4
	s_cbranch_execnz .LBB25_24
.LBB25_25:
	s_endpgm
	.section	.rodata,"a",@progbits
	.p2align	6, 0x0
	.amdhsa_kernel _ZN2at6native12_GLOBAL__N_125multi_tensor_apply_kernelINS1_18TensorListMetadataILi1EEENS1_27BinaryOpScalarTensorFunctorIaLi1ELi1ELi0EEEJSt10multipliesIaEPaaEEEvT_T0_DpT1_
		.amdhsa_group_segment_fixed_size 0
		.amdhsa_private_segment_fixed_size 0
		.amdhsa_kernarg_size 3648
		.amdhsa_user_sgpr_count 2
		.amdhsa_user_sgpr_dispatch_ptr 0
		.amdhsa_user_sgpr_queue_ptr 0
		.amdhsa_user_sgpr_kernarg_segment_ptr 1
		.amdhsa_user_sgpr_dispatch_id 0
		.amdhsa_user_sgpr_private_segment_size 0
		.amdhsa_wavefront_size32 1
		.amdhsa_uses_dynamic_stack 0
		.amdhsa_enable_private_segment 0
		.amdhsa_system_sgpr_workgroup_id_x 1
		.amdhsa_system_sgpr_workgroup_id_y 0
		.amdhsa_system_sgpr_workgroup_id_z 0
		.amdhsa_system_sgpr_workgroup_info 0
		.amdhsa_system_vgpr_workitem_id 0
		.amdhsa_next_free_vgpr 21
		.amdhsa_next_free_sgpr 24
		.amdhsa_reserve_vcc 1
		.amdhsa_float_round_mode_32 0
		.amdhsa_float_round_mode_16_64 0
		.amdhsa_float_denorm_mode_32 3
		.amdhsa_float_denorm_mode_16_64 3
		.amdhsa_fp16_overflow 0
		.amdhsa_workgroup_processor_mode 1
		.amdhsa_memory_ordered 1
		.amdhsa_forward_progress 1
		.amdhsa_inst_pref_size 13
		.amdhsa_round_robin_scheduling 0
		.amdhsa_exception_fp_ieee_invalid_op 0
		.amdhsa_exception_fp_denorm_src 0
		.amdhsa_exception_fp_ieee_div_zero 0
		.amdhsa_exception_fp_ieee_overflow 0
		.amdhsa_exception_fp_ieee_underflow 0
		.amdhsa_exception_fp_ieee_inexact 0
		.amdhsa_exception_int_div_zero 0
	.end_amdhsa_kernel
	.section	.text._ZN2at6native12_GLOBAL__N_125multi_tensor_apply_kernelINS1_18TensorListMetadataILi1EEENS1_27BinaryOpScalarTensorFunctorIaLi1ELi1ELi0EEEJSt10multipliesIaEPaaEEEvT_T0_DpT1_,"axG",@progbits,_ZN2at6native12_GLOBAL__N_125multi_tensor_apply_kernelINS1_18TensorListMetadataILi1EEENS1_27BinaryOpScalarTensorFunctorIaLi1ELi1ELi0EEEJSt10multipliesIaEPaaEEEvT_T0_DpT1_,comdat
.Lfunc_end25:
	.size	_ZN2at6native12_GLOBAL__N_125multi_tensor_apply_kernelINS1_18TensorListMetadataILi1EEENS1_27BinaryOpScalarTensorFunctorIaLi1ELi1ELi0EEEJSt10multipliesIaEPaaEEEvT_T0_DpT1_, .Lfunc_end25-_ZN2at6native12_GLOBAL__N_125multi_tensor_apply_kernelINS1_18TensorListMetadataILi1EEENS1_27BinaryOpScalarTensorFunctorIaLi1ELi1ELi0EEEJSt10multipliesIaEPaaEEEvT_T0_DpT1_
                                        ; -- End function
	.set _ZN2at6native12_GLOBAL__N_125multi_tensor_apply_kernelINS1_18TensorListMetadataILi1EEENS1_27BinaryOpScalarTensorFunctorIaLi1ELi1ELi0EEEJSt10multipliesIaEPaaEEEvT_T0_DpT1_.num_vgpr, 21
	.set _ZN2at6native12_GLOBAL__N_125multi_tensor_apply_kernelINS1_18TensorListMetadataILi1EEENS1_27BinaryOpScalarTensorFunctorIaLi1ELi1ELi0EEEJSt10multipliesIaEPaaEEEvT_T0_DpT1_.num_agpr, 0
	.set _ZN2at6native12_GLOBAL__N_125multi_tensor_apply_kernelINS1_18TensorListMetadataILi1EEENS1_27BinaryOpScalarTensorFunctorIaLi1ELi1ELi0EEEJSt10multipliesIaEPaaEEEvT_T0_DpT1_.numbered_sgpr, 24
	.set _ZN2at6native12_GLOBAL__N_125multi_tensor_apply_kernelINS1_18TensorListMetadataILi1EEENS1_27BinaryOpScalarTensorFunctorIaLi1ELi1ELi0EEEJSt10multipliesIaEPaaEEEvT_T0_DpT1_.num_named_barrier, 0
	.set _ZN2at6native12_GLOBAL__N_125multi_tensor_apply_kernelINS1_18TensorListMetadataILi1EEENS1_27BinaryOpScalarTensorFunctorIaLi1ELi1ELi0EEEJSt10multipliesIaEPaaEEEvT_T0_DpT1_.private_seg_size, 0
	.set _ZN2at6native12_GLOBAL__N_125multi_tensor_apply_kernelINS1_18TensorListMetadataILi1EEENS1_27BinaryOpScalarTensorFunctorIaLi1ELi1ELi0EEEJSt10multipliesIaEPaaEEEvT_T0_DpT1_.uses_vcc, 1
	.set _ZN2at6native12_GLOBAL__N_125multi_tensor_apply_kernelINS1_18TensorListMetadataILi1EEENS1_27BinaryOpScalarTensorFunctorIaLi1ELi1ELi0EEEJSt10multipliesIaEPaaEEEvT_T0_DpT1_.uses_flat_scratch, 0
	.set _ZN2at6native12_GLOBAL__N_125multi_tensor_apply_kernelINS1_18TensorListMetadataILi1EEENS1_27BinaryOpScalarTensorFunctorIaLi1ELi1ELi0EEEJSt10multipliesIaEPaaEEEvT_T0_DpT1_.has_dyn_sized_stack, 0
	.set _ZN2at6native12_GLOBAL__N_125multi_tensor_apply_kernelINS1_18TensorListMetadataILi1EEENS1_27BinaryOpScalarTensorFunctorIaLi1ELi1ELi0EEEJSt10multipliesIaEPaaEEEvT_T0_DpT1_.has_recursion, 0
	.set _ZN2at6native12_GLOBAL__N_125multi_tensor_apply_kernelINS1_18TensorListMetadataILi1EEENS1_27BinaryOpScalarTensorFunctorIaLi1ELi1ELi0EEEJSt10multipliesIaEPaaEEEvT_T0_DpT1_.has_indirect_call, 0
	.section	.AMDGPU.csdata,"",@progbits
; Kernel info:
; codeLenInByte = 1556
; TotalNumSgprs: 26
; NumVgprs: 21
; ScratchSize: 0
; MemoryBound: 0
; FloatMode: 240
; IeeeMode: 1
; LDSByteSize: 0 bytes/workgroup (compile time only)
; SGPRBlocks: 0
; VGPRBlocks: 2
; NumSGPRsForWavesPerEU: 26
; NumVGPRsForWavesPerEU: 21
; Occupancy: 16
; WaveLimiterHint : 0
; COMPUTE_PGM_RSRC2:SCRATCH_EN: 0
; COMPUTE_PGM_RSRC2:USER_SGPR: 2
; COMPUTE_PGM_RSRC2:TRAP_HANDLER: 0
; COMPUTE_PGM_RSRC2:TGID_X_EN: 1
; COMPUTE_PGM_RSRC2:TGID_Y_EN: 0
; COMPUTE_PGM_RSRC2:TGID_Z_EN: 0
; COMPUTE_PGM_RSRC2:TIDIG_COMP_CNT: 0
	.section	.text._ZN2at6native12_GLOBAL__N_125multi_tensor_apply_kernelINS1_18TensorListMetadataILi1EEENS1_27BinaryOpScalarTensorFunctorIiLi1ELi1ELi0EEEJSt10multipliesIiEPiiEEEvT_T0_DpT1_,"axG",@progbits,_ZN2at6native12_GLOBAL__N_125multi_tensor_apply_kernelINS1_18TensorListMetadataILi1EEENS1_27BinaryOpScalarTensorFunctorIiLi1ELi1ELi0EEEJSt10multipliesIiEPiiEEEvT_T0_DpT1_,comdat
	.globl	_ZN2at6native12_GLOBAL__N_125multi_tensor_apply_kernelINS1_18TensorListMetadataILi1EEENS1_27BinaryOpScalarTensorFunctorIiLi1ELi1ELi0EEEJSt10multipliesIiEPiiEEEvT_T0_DpT1_ ; -- Begin function _ZN2at6native12_GLOBAL__N_125multi_tensor_apply_kernelINS1_18TensorListMetadataILi1EEENS1_27BinaryOpScalarTensorFunctorIiLi1ELi1ELi0EEEJSt10multipliesIiEPiiEEEvT_T0_DpT1_
	.p2align	8
	.type	_ZN2at6native12_GLOBAL__N_125multi_tensor_apply_kernelINS1_18TensorListMetadataILi1EEENS1_27BinaryOpScalarTensorFunctorIiLi1ELi1ELi0EEEJSt10multipliesIiEPiiEEEvT_T0_DpT1_,@function
_ZN2at6native12_GLOBAL__N_125multi_tensor_apply_kernelINS1_18TensorListMetadataILi1EEENS1_27BinaryOpScalarTensorFunctorIiLi1ELi1ELi0EEEJSt10multipliesIiEPiiEEEvT_T0_DpT1_: ; @_ZN2at6native12_GLOBAL__N_125multi_tensor_apply_kernelINS1_18TensorListMetadataILi1EEENS1_27BinaryOpScalarTensorFunctorIiLi1ELi1ELi0EEEJSt10multipliesIiEPiiEEEvT_T0_DpT1_
; %bb.0:
	s_mov_b32 s2, ttmp9
	s_mov_b32 s3, 0
	s_delay_alu instid0(SALU_CYCLE_1)
	s_mul_u64 s[4:5], s[2:3], 3
	s_add_nc_u64 s[6:7], s[0:1], s[2:3]
	s_mov_b32 s17, s3
	s_add_nc_u64 s[4:5], s[6:7], s[4:5]
	s_clause 0x1
	s_load_b32 s4, s[4:5], 0x820
	s_load_u8 s2, s[0:1], ttmp9 offset:0x6e0
	s_wait_kmcnt 0x0
	s_ashr_i32 s5, s4, 31
	s_lshl_b32 s2, s2, 3
	s_clause 0x2
	s_load_b64 s[6:7], s[0:1], s2 offset:0x0
	s_load_b64 s[14:15], s[0:1], s2 offset:0x370
	s_load_b96 s[8:10], s[0:1], 0xd30
	s_lshl_b64 s[12:13], s[4:5], 18
	s_lshl_b64 s[4:5], s[4:5], 16
	s_wait_kmcnt 0x0
	s_and_b32 s2, s6, 15
	s_and_b32 s16, s14, 3
	s_sub_nc_u64 s[14:15], s[14:15], s[4:5]
	s_or_b64 s[2:3], s[2:3], s[16:17]
	s_delay_alu instid0(SALU_CYCLE_1)
	s_cmp_eq_u64 s[2:3], 0
	s_cbranch_scc1 .LBB26_21
; %bb.1:
	v_cmp_lt_i64_e64 s2, s[14:15], 1
	s_and_b32 vcc_lo, exec_lo, s2
	s_cbranch_vccnz .LBB26_20
; %bb.2:
	s_load_b32 s2, s[0:1], 0xd4c
	v_cmp_gt_i64_e64 s11, 0x10000, s[14:15]
	v_lshlrev_b32_e32 v1, 2, v0
	s_add_nc_u64 s[4:5], s[6:7], s[12:13]
	s_mov_b32 s3, 0
	v_cmp_gt_u64_e64 s16, 0x10000, s[14:15]
	s_mov_b32 s17, s3
	v_add_co_u32 v1, s18, s4, v1
	s_and_b32 s11, s11, exec_lo
	v_add_co_ci_u32_e64 v2, null, s5, 0, s18
	s_cselect_b32 s19, s15, 0
	s_cselect_b32 s18, s14, 0x10000
	v_mov_b32_e32 v5, 0
	s_wait_kmcnt 0x0
	s_and_b32 s2, s2, 0xffff
	s_and_b32 s11, s16, exec_lo
	s_mul_u64 s[22:23], s[2:3], 12
	v_add_co_u32 v6, s3, v0, s2
	s_cselect_b32 s21, s15, 0
	s_cselect_b32 s20, s14, 0x10000
	s_lshl_b32 s11, s2, 1
	v_lshlrev_b32_e32 v3, 2, v6
	s_mul_i32 s24, s2, 3
	v_add_co_ci_u32_e64 v9, null, 0, 0, s3
	v_add_co_u32 v10, s3, s11, v0
	v_add_co_u32 v7, s24, s24, v0
	s_wait_alu 0xf1ff
	v_add_co_ci_u32_e64 v11, null, 0, 0, s3
	v_add_co_u32 v3, s3, s4, v3
	v_add_co_ci_u32_e64 v8, null, 0, 0, s24
	s_wait_alu 0xf1ff
	v_add_co_ci_u32_e64 v4, null, s5, 0, s3
	s_lshl_b32 s16, s2, 2
	s_lshl_b32 s11, s2, 4
	s_lshl_b32 s26, s2, 3
	s_mov_b64 s[24:25], 0
	s_branch .LBB26_4
.LBB26_3:                               ;   in Loop: Header=BB26_4 Depth=1
	s_wait_alu 0xfffe
	s_or_b32 exec_lo, exec_lo, s2
	s_add_nc_u64 s[24:25], s[24:25], s[16:17]
	v_add_co_u32 v1, vcc_lo, v1, s11
	s_wait_alu 0xfffe
	v_cmp_lt_i64_e64 s2, s[24:25], s[18:19]
	s_wait_alu 0xfffd
	v_add_co_ci_u32_e64 v2, null, 0, v2, vcc_lo
	v_add_co_u32 v3, vcc_lo, v3, s11
	s_wait_alu 0xfffd
	v_add_co_ci_u32_e64 v4, null, 0, v4, vcc_lo
	s_and_b32 vcc_lo, exec_lo, s2
	s_wait_alu 0xfffe
	s_cbranch_vccz .LBB26_20
.LBB26_4:                               ; =>This Inner Loop Header: Depth=1
	s_wait_alu 0xfffe
	v_add_co_u32 v12, s2, v0, s24
	s_wait_alu 0xf1ff
	v_add_co_ci_u32_e64 v13, null, 0, s25, s2
	s_delay_alu instid0(VALU_DEP_1)
	v_cmp_gt_u64_e32 vcc_lo, s[20:21], v[12:13]
	v_mov_b32_e32 v12, 0
	s_and_saveexec_b32 s2, vcc_lo
	s_cbranch_execz .LBB26_6
; %bb.5:                                ;   in Loop: Header=BB26_4 Depth=1
	global_load_b32 v12, v[1:2], off
.LBB26_6:                               ;   in Loop: Header=BB26_4 Depth=1
	s_wait_alu 0xfffe
	s_or_b32 exec_lo, exec_lo, s2
	v_add_co_u32 v13, s2, v6, s24
	s_wait_alu 0xf1ff
	v_add_co_ci_u32_e64 v14, null, s25, v9, s2
	s_delay_alu instid0(VALU_DEP_1)
	v_cmp_gt_u64_e64 s2, s[20:21], v[13:14]
	v_dual_mov_b32 v13, 0 :: v_dual_mov_b32 v14, 0
	s_and_saveexec_b32 s3, s2
	s_cbranch_execz .LBB26_8
; %bb.7:                                ;   in Loop: Header=BB26_4 Depth=1
	global_load_b32 v14, v[3:4], off
.LBB26_8:                               ;   in Loop: Header=BB26_4 Depth=1
	s_wait_alu 0xfffe
	s_or_b32 exec_lo, exec_lo, s3
	v_add_co_u32 v15, s3, v10, s24
	s_wait_alu 0xf1ff
	v_add_co_ci_u32_e64 v16, null, s25, v11, s3
	s_delay_alu instid0(VALU_DEP_1)
	v_cmp_gt_u64_e64 s3, s[20:21], v[15:16]
	s_and_saveexec_b32 s5, s3
	s_cbranch_execz .LBB26_10
; %bb.9:                                ;   in Loop: Header=BB26_4 Depth=1
	v_add_co_u32 v15, s4, v1, s26
	s_wait_alu 0xf1ff
	v_add_co_ci_u32_e64 v16, null, 0, v2, s4
	global_load_b32 v13, v[15:16], off
.LBB26_10:                              ;   in Loop: Header=BB26_4 Depth=1
	s_wait_alu 0xfffe
	s_or_b32 exec_lo, exec_lo, s5
	v_add_co_u32 v15, s4, v7, s24
	s_wait_alu 0xf1ff
	v_add_co_ci_u32_e64 v16, null, s25, v8, s4
	s_delay_alu instid0(VALU_DEP_1)
	v_cmp_gt_u64_e64 s4, s[20:21], v[15:16]
	v_mov_b32_e32 v15, 0
	s_and_saveexec_b32 s27, s4
	s_cbranch_execz .LBB26_12
; %bb.11:                               ;   in Loop: Header=BB26_4 Depth=1
	v_add_co_u32 v15, s5, v1, s22
	s_wait_alu 0xf1ff
	v_add_co_ci_u32_e64 v16, null, s23, v2, s5
	global_load_b32 v15, v[15:16], off
.LBB26_12:                              ;   in Loop: Header=BB26_4 Depth=1
	s_wait_alu 0xfffe
	s_or_b32 exec_lo, exec_lo, s27
	global_load_b32 v16, v5, s[8:9]
	s_wait_loadcnt 0x0
	v_mul_lo_u32 v16, v16, s10
	s_and_saveexec_b32 s5, vcc_lo
	s_cbranch_execnz .LBB26_16
; %bb.13:                               ;   in Loop: Header=BB26_4 Depth=1
	s_wait_alu 0xfffe
	s_or_b32 exec_lo, exec_lo, s5
	s_and_saveexec_b32 s5, s2
	s_cbranch_execnz .LBB26_17
.LBB26_14:                              ;   in Loop: Header=BB26_4 Depth=1
	s_wait_alu 0xfffe
	s_or_b32 exec_lo, exec_lo, s5
	s_and_saveexec_b32 s2, s3
	s_cbranch_execnz .LBB26_18
.LBB26_15:                              ;   in Loop: Header=BB26_4 Depth=1
	s_wait_alu 0xfffe
	s_or_b32 exec_lo, exec_lo, s2
	s_and_saveexec_b32 s2, s4
	s_cbranch_execz .LBB26_3
	s_branch .LBB26_19
.LBB26_16:                              ;   in Loop: Header=BB26_4 Depth=1
	s_delay_alu instid0(VALU_DEP_1)
	v_mul_lo_u32 v12, v16, v12
	global_store_b32 v[1:2], v12, off
	s_wait_alu 0xfffe
	s_or_b32 exec_lo, exec_lo, s5
	s_and_saveexec_b32 s5, s2
	s_cbranch_execz .LBB26_14
.LBB26_17:                              ;   in Loop: Header=BB26_4 Depth=1
	s_delay_alu instid0(VALU_DEP_1)
	v_mul_lo_u32 v12, v16, v14
	global_store_b32 v[3:4], v12, off
	s_wait_alu 0xfffe
	s_or_b32 exec_lo, exec_lo, s5
	s_and_saveexec_b32 s2, s3
	s_cbranch_execz .LBB26_15
.LBB26_18:                              ;   in Loop: Header=BB26_4 Depth=1
	v_mul_lo_u32 v14, v16, v13
	v_add_co_u32 v12, vcc_lo, v1, s26
	s_wait_alu 0xfffd
	v_add_co_ci_u32_e64 v13, null, 0, v2, vcc_lo
	global_store_b32 v[12:13], v14, off
	s_wait_alu 0xfffe
	s_or_b32 exec_lo, exec_lo, s2
	s_and_saveexec_b32 s2, s4
	s_cbranch_execz .LBB26_3
.LBB26_19:                              ;   in Loop: Header=BB26_4 Depth=1
	v_mul_lo_u32 v14, v16, v15
	v_add_co_u32 v12, vcc_lo, v1, s22
	s_wait_alu 0xfffd
	v_add_co_ci_u32_e64 v13, null, s23, v2, vcc_lo
	global_store_b32 v[12:13], v14, off
	s_branch .LBB26_3
.LBB26_20:
	s_cbranch_execz .LBB26_22
	s_branch .LBB26_25
.LBB26_21:
.LBB26_22:
	v_cmp_gt_i64_e64 s2, 0x10000, s[14:15]
	v_dual_mov_b32 v2, 0 :: v_dual_lshlrev_b32 v1, 2, v0
	s_mov_b32 s4, 0
	s_mov_b32 s5, exec_lo
	s_and_b32 s2, s2, exec_lo
	s_cselect_b32 s3, s15, 0
	s_cselect_b32 s2, s14, 0x10000
	s_wait_alu 0xfffe
	v_cmpx_gt_i64_e64 s[2:3], v[1:2]
	s_cbranch_execz .LBB26_25
; %bb.23:
	s_load_b32 s5, s[0:1], 0xd4c
	v_lshlrev_b32_e32 v1, 4, v0
	s_add_nc_u64 s[0:1], s[6:7], s[12:13]
	s_delay_alu instid0(VALU_DEP_1) | instid1(SALU_CYCLE_1)
	v_add_co_u32 v3, s0, s0, v1
	s_wait_alu 0xf1ff
	v_add_co_ci_u32_e64 v4, null, s1, 0, s0
	v_mov_b32_e32 v1, v2
	s_delay_alu instid0(VALU_DEP_3) | instskip(SKIP_1) | instid1(VALU_DEP_3)
	v_add_co_u32 v3, vcc_lo, v3, 8
	s_wait_alu 0xfffd
	v_add_co_ci_u32_e64 v4, null, 0, v4, vcc_lo
	s_wait_kmcnt 0x0
	s_and_b32 s1, s5, 0xffff
	s_wait_alu 0xfffe
	s_lshl_b32 s5, s1, 4
.LBB26_24:                              ; =>This Inner Loop Header: Depth=1
	global_load_b32 v11, v2, s[8:9]
	global_load_b128 v[5:8], v[3:4], off offset:-8
	v_add_co_u32 v0, vcc_lo, v0, s1
	s_wait_alu 0xfffd
	v_add_co_ci_u32_e64 v1, null, 0, v1, vcc_lo
	s_delay_alu instid0(VALU_DEP_1) | instskip(NEXT) | instid1(VALU_DEP_1)
	v_lshlrev_b64_e32 v[9:10], 2, v[0:1]
	v_cmp_le_i64_e32 vcc_lo, s[2:3], v[9:10]
	s_or_b32 s4, vcc_lo, s4
	s_wait_loadcnt 0x1
	v_mul_lo_u32 v11, v11, s10
	s_wait_loadcnt 0x0
	s_delay_alu instid0(VALU_DEP_1)
	v_mul_lo_u32 v5, v11, v5
	v_mul_lo_u32 v6, v11, v6
	;; [unrolled: 1-line block ×4, first 2 shown]
	global_store_b128 v[3:4], v[5:8], off offset:-8
	s_wait_alu 0xfffe
	v_add_co_u32 v3, s0, v3, s5
	s_wait_alu 0xf1ff
	v_add_co_ci_u32_e64 v4, null, 0, v4, s0
	s_and_not1_b32 exec_lo, exec_lo, s4
	s_cbranch_execnz .LBB26_24
.LBB26_25:
	s_endpgm
	.section	.rodata,"a",@progbits
	.p2align	6, 0x0
	.amdhsa_kernel _ZN2at6native12_GLOBAL__N_125multi_tensor_apply_kernelINS1_18TensorListMetadataILi1EEENS1_27BinaryOpScalarTensorFunctorIiLi1ELi1ELi0EEEJSt10multipliesIiEPiiEEEvT_T0_DpT1_
		.amdhsa_group_segment_fixed_size 0
		.amdhsa_private_segment_fixed_size 0
		.amdhsa_kernarg_size 3648
		.amdhsa_user_sgpr_count 2
		.amdhsa_user_sgpr_dispatch_ptr 0
		.amdhsa_user_sgpr_queue_ptr 0
		.amdhsa_user_sgpr_kernarg_segment_ptr 1
		.amdhsa_user_sgpr_dispatch_id 0
		.amdhsa_user_sgpr_private_segment_size 0
		.amdhsa_wavefront_size32 1
		.amdhsa_uses_dynamic_stack 0
		.amdhsa_enable_private_segment 0
		.amdhsa_system_sgpr_workgroup_id_x 1
		.amdhsa_system_sgpr_workgroup_id_y 0
		.amdhsa_system_sgpr_workgroup_id_z 0
		.amdhsa_system_sgpr_workgroup_info 0
		.amdhsa_system_vgpr_workitem_id 0
		.amdhsa_next_free_vgpr 17
		.amdhsa_next_free_sgpr 28
		.amdhsa_reserve_vcc 1
		.amdhsa_float_round_mode_32 0
		.amdhsa_float_round_mode_16_64 0
		.amdhsa_float_denorm_mode_32 3
		.amdhsa_float_denorm_mode_16_64 3
		.amdhsa_fp16_overflow 0
		.amdhsa_workgroup_processor_mode 1
		.amdhsa_memory_ordered 1
		.amdhsa_forward_progress 1
		.amdhsa_inst_pref_size 11
		.amdhsa_round_robin_scheduling 0
		.amdhsa_exception_fp_ieee_invalid_op 0
		.amdhsa_exception_fp_denorm_src 0
		.amdhsa_exception_fp_ieee_div_zero 0
		.amdhsa_exception_fp_ieee_overflow 0
		.amdhsa_exception_fp_ieee_underflow 0
		.amdhsa_exception_fp_ieee_inexact 0
		.amdhsa_exception_int_div_zero 0
	.end_amdhsa_kernel
	.section	.text._ZN2at6native12_GLOBAL__N_125multi_tensor_apply_kernelINS1_18TensorListMetadataILi1EEENS1_27BinaryOpScalarTensorFunctorIiLi1ELi1ELi0EEEJSt10multipliesIiEPiiEEEvT_T0_DpT1_,"axG",@progbits,_ZN2at6native12_GLOBAL__N_125multi_tensor_apply_kernelINS1_18TensorListMetadataILi1EEENS1_27BinaryOpScalarTensorFunctorIiLi1ELi1ELi0EEEJSt10multipliesIiEPiiEEEvT_T0_DpT1_,comdat
.Lfunc_end26:
	.size	_ZN2at6native12_GLOBAL__N_125multi_tensor_apply_kernelINS1_18TensorListMetadataILi1EEENS1_27BinaryOpScalarTensorFunctorIiLi1ELi1ELi0EEEJSt10multipliesIiEPiiEEEvT_T0_DpT1_, .Lfunc_end26-_ZN2at6native12_GLOBAL__N_125multi_tensor_apply_kernelINS1_18TensorListMetadataILi1EEENS1_27BinaryOpScalarTensorFunctorIiLi1ELi1ELi0EEEJSt10multipliesIiEPiiEEEvT_T0_DpT1_
                                        ; -- End function
	.set _ZN2at6native12_GLOBAL__N_125multi_tensor_apply_kernelINS1_18TensorListMetadataILi1EEENS1_27BinaryOpScalarTensorFunctorIiLi1ELi1ELi0EEEJSt10multipliesIiEPiiEEEvT_T0_DpT1_.num_vgpr, 17
	.set _ZN2at6native12_GLOBAL__N_125multi_tensor_apply_kernelINS1_18TensorListMetadataILi1EEENS1_27BinaryOpScalarTensorFunctorIiLi1ELi1ELi0EEEJSt10multipliesIiEPiiEEEvT_T0_DpT1_.num_agpr, 0
	.set _ZN2at6native12_GLOBAL__N_125multi_tensor_apply_kernelINS1_18TensorListMetadataILi1EEENS1_27BinaryOpScalarTensorFunctorIiLi1ELi1ELi0EEEJSt10multipliesIiEPiiEEEvT_T0_DpT1_.numbered_sgpr, 28
	.set _ZN2at6native12_GLOBAL__N_125multi_tensor_apply_kernelINS1_18TensorListMetadataILi1EEENS1_27BinaryOpScalarTensorFunctorIiLi1ELi1ELi0EEEJSt10multipliesIiEPiiEEEvT_T0_DpT1_.num_named_barrier, 0
	.set _ZN2at6native12_GLOBAL__N_125multi_tensor_apply_kernelINS1_18TensorListMetadataILi1EEENS1_27BinaryOpScalarTensorFunctorIiLi1ELi1ELi0EEEJSt10multipliesIiEPiiEEEvT_T0_DpT1_.private_seg_size, 0
	.set _ZN2at6native12_GLOBAL__N_125multi_tensor_apply_kernelINS1_18TensorListMetadataILi1EEENS1_27BinaryOpScalarTensorFunctorIiLi1ELi1ELi0EEEJSt10multipliesIiEPiiEEEvT_T0_DpT1_.uses_vcc, 1
	.set _ZN2at6native12_GLOBAL__N_125multi_tensor_apply_kernelINS1_18TensorListMetadataILi1EEENS1_27BinaryOpScalarTensorFunctorIiLi1ELi1ELi0EEEJSt10multipliesIiEPiiEEEvT_T0_DpT1_.uses_flat_scratch, 0
	.set _ZN2at6native12_GLOBAL__N_125multi_tensor_apply_kernelINS1_18TensorListMetadataILi1EEENS1_27BinaryOpScalarTensorFunctorIiLi1ELi1ELi0EEEJSt10multipliesIiEPiiEEEvT_T0_DpT1_.has_dyn_sized_stack, 0
	.set _ZN2at6native12_GLOBAL__N_125multi_tensor_apply_kernelINS1_18TensorListMetadataILi1EEENS1_27BinaryOpScalarTensorFunctorIiLi1ELi1ELi0EEEJSt10multipliesIiEPiiEEEvT_T0_DpT1_.has_recursion, 0
	.set _ZN2at6native12_GLOBAL__N_125multi_tensor_apply_kernelINS1_18TensorListMetadataILi1EEENS1_27BinaryOpScalarTensorFunctorIiLi1ELi1ELi0EEEJSt10multipliesIiEPiiEEEvT_T0_DpT1_.has_indirect_call, 0
	.section	.AMDGPU.csdata,"",@progbits
; Kernel info:
; codeLenInByte = 1316
; TotalNumSgprs: 30
; NumVgprs: 17
; ScratchSize: 0
; MemoryBound: 0
; FloatMode: 240
; IeeeMode: 1
; LDSByteSize: 0 bytes/workgroup (compile time only)
; SGPRBlocks: 0
; VGPRBlocks: 2
; NumSGPRsForWavesPerEU: 30
; NumVGPRsForWavesPerEU: 17
; Occupancy: 16
; WaveLimiterHint : 0
; COMPUTE_PGM_RSRC2:SCRATCH_EN: 0
; COMPUTE_PGM_RSRC2:USER_SGPR: 2
; COMPUTE_PGM_RSRC2:TRAP_HANDLER: 0
; COMPUTE_PGM_RSRC2:TGID_X_EN: 1
; COMPUTE_PGM_RSRC2:TGID_Y_EN: 0
; COMPUTE_PGM_RSRC2:TGID_Z_EN: 0
; COMPUTE_PGM_RSRC2:TIDIG_COMP_CNT: 0
	.section	.text._ZN2at6native12_GLOBAL__N_125multi_tensor_apply_kernelINS1_18TensorListMetadataILi1EEENS1_27BinaryOpScalarTensorFunctorIlLi1ELi1ELi0EEEJSt10multipliesIlEPllEEEvT_T0_DpT1_,"axG",@progbits,_ZN2at6native12_GLOBAL__N_125multi_tensor_apply_kernelINS1_18TensorListMetadataILi1EEENS1_27BinaryOpScalarTensorFunctorIlLi1ELi1ELi0EEEJSt10multipliesIlEPllEEEvT_T0_DpT1_,comdat
	.globl	_ZN2at6native12_GLOBAL__N_125multi_tensor_apply_kernelINS1_18TensorListMetadataILi1EEENS1_27BinaryOpScalarTensorFunctorIlLi1ELi1ELi0EEEJSt10multipliesIlEPllEEEvT_T0_DpT1_ ; -- Begin function _ZN2at6native12_GLOBAL__N_125multi_tensor_apply_kernelINS1_18TensorListMetadataILi1EEENS1_27BinaryOpScalarTensorFunctorIlLi1ELi1ELi0EEEJSt10multipliesIlEPllEEEvT_T0_DpT1_
	.p2align	8
	.type	_ZN2at6native12_GLOBAL__N_125multi_tensor_apply_kernelINS1_18TensorListMetadataILi1EEENS1_27BinaryOpScalarTensorFunctorIlLi1ELi1ELi0EEEJSt10multipliesIlEPllEEEvT_T0_DpT1_,@function
_ZN2at6native12_GLOBAL__N_125multi_tensor_apply_kernelINS1_18TensorListMetadataILi1EEENS1_27BinaryOpScalarTensorFunctorIlLi1ELi1ELi0EEEJSt10multipliesIlEPllEEEvT_T0_DpT1_: ; @_ZN2at6native12_GLOBAL__N_125multi_tensor_apply_kernelINS1_18TensorListMetadataILi1EEENS1_27BinaryOpScalarTensorFunctorIlLi1ELi1ELi0EEEJSt10multipliesIlEPllEEEvT_T0_DpT1_
; %bb.0:
	s_mov_b32 s2, ttmp9
	s_mov_b32 s3, 0
	s_delay_alu instid0(SALU_CYCLE_1)
	s_mul_u64 s[4:5], s[2:3], 3
	s_add_nc_u64 s[6:7], s[0:1], s[2:3]
	s_mov_b32 s17, s3
	s_add_nc_u64 s[4:5], s[6:7], s[4:5]
	s_clause 0x1
	s_load_b32 s4, s[4:5], 0x820
	s_load_u8 s2, s[0:1], ttmp9 offset:0x6e0
	s_wait_kmcnt 0x0
	s_ashr_i32 s5, s4, 31
	s_lshl_b32 s2, s2, 3
	s_clause 0x2
	s_load_b64 s[6:7], s[0:1], s2 offset:0x0
	s_load_b64 s[14:15], s[0:1], s2 offset:0x370
	s_load_b128 s[8:11], s[0:1], 0xd30
	s_lshl_b64 s[12:13], s[4:5], 19
	s_lshl_b64 s[4:5], s[4:5], 16
	s_wait_kmcnt 0x0
	s_and_b32 s2, s6, 31
	s_and_b32 s16, s14, 3
	s_sub_nc_u64 s[14:15], s[14:15], s[4:5]
	s_or_b64 s[2:3], s[2:3], s[16:17]
	s_delay_alu instid0(SALU_CYCLE_1)
	s_cmp_eq_u64 s[2:3], 0
	s_cbranch_scc1 .LBB27_21
; %bb.1:
	v_cmp_lt_i64_e64 s2, s[14:15], 1
	s_and_b32 vcc_lo, exec_lo, s2
	s_cbranch_vccnz .LBB27_20
; %bb.2:
	s_load_b32 s2, s[0:1], 0xd4c
	v_cmp_gt_i64_e64 s16, 0x10000, s[14:15]
	v_lshlrev_b32_e32 v1, 3, v0
	s_add_nc_u64 s[4:5], s[6:7], s[12:13]
	s_mov_b32 s3, 0
	v_cmp_gt_u64_e64 s20, 0x10000, s[14:15]
	s_mov_b32 s17, s3
	v_add_co_u32 v1, s18, s4, v1
	s_and_b32 s16, s16, exec_lo
	v_add_co_ci_u32_e64 v2, null, s5, 0, s18
	s_cselect_b32 s19, s15, 0
	s_cselect_b32 s18, s14, 0x10000
	v_mov_b32_e32 v13, 0
	s_wait_kmcnt 0x0
	s_and_b32 s2, s2, 0xffff
	s_and_b32 s16, s20, exec_lo
	s_mul_u64 s[22:23], s[2:3], 24
	v_add_co_u32 v14, s3, v0, s2
	s_cselect_b32 s21, s15, 0
	s_cselect_b32 s20, s14, 0x10000
	s_lshl_b32 s24, s2, 1
	v_lshlrev_b32_e32 v3, 3, v14
	s_mul_i32 s25, s2, 3
	v_add_co_ci_u32_e64 v17, null, 0, 0, s3
	v_add_co_u32 v18, s3, s24, v0
	v_add_co_u32 v15, s25, s25, v0
	s_wait_alu 0xf1ff
	v_add_co_ci_u32_e64 v19, null, 0, 0, s3
	v_add_co_u32 v3, s3, s4, v3
	v_add_co_ci_u32_e64 v16, null, 0, 0, s25
	s_wait_alu 0xf1ff
	v_add_co_ci_u32_e64 v4, null, s5, 0, s3
	s_lshl_b32 s16, s2, 2
	s_lshl_b32 s26, s2, 5
	;; [unrolled: 1-line block ×3, first 2 shown]
	s_mov_b64 s[24:25], 0
	s_branch .LBB27_4
.LBB27_3:                               ;   in Loop: Header=BB27_4 Depth=1
	s_wait_alu 0xfffe
	s_or_b32 exec_lo, exec_lo, s2
	s_add_nc_u64 s[24:25], s[24:25], s[16:17]
	v_add_co_u32 v1, vcc_lo, v1, s26
	s_wait_alu 0xfffe
	v_cmp_lt_i64_e64 s2, s[24:25], s[18:19]
	s_wait_alu 0xfffd
	v_add_co_ci_u32_e64 v2, null, 0, v2, vcc_lo
	v_add_co_u32 v3, vcc_lo, v3, s26
	s_wait_alu 0xfffd
	v_add_co_ci_u32_e64 v4, null, 0, v4, vcc_lo
	s_and_b32 vcc_lo, exec_lo, s2
	s_wait_alu 0xfffe
	s_cbranch_vccz .LBB27_20
.LBB27_4:                               ; =>This Inner Loop Header: Depth=1
	s_wait_alu 0xfffe
	v_add_co_u32 v7, s2, v0, s24
	s_wait_alu 0xf1ff
	v_add_co_ci_u32_e64 v8, null, 0, s25, s2
	v_mov_b32_e32 v5, 0
	v_dual_mov_b32 v6, 0 :: v_dual_mov_b32 v9, 0
	s_delay_alu instid0(VALU_DEP_3)
	v_cmp_gt_u64_e32 vcc_lo, s[20:21], v[7:8]
	v_mov_b32_e32 v10, 0
	s_and_saveexec_b32 s2, vcc_lo
	s_cbranch_execz .LBB27_6
; %bb.5:                                ;   in Loop: Header=BB27_4 Depth=1
	global_load_b64 v[9:10], v[1:2], off
.LBB27_6:                               ;   in Loop: Header=BB27_4 Depth=1
	s_wait_alu 0xfffe
	s_or_b32 exec_lo, exec_lo, s2
	v_add_co_u32 v7, s2, v14, s24
	s_wait_alu 0xf1ff
	v_add_co_ci_u32_e64 v8, null, s25, v17, s2
	s_delay_alu instid0(VALU_DEP_1)
	v_cmp_gt_u64_e64 s2, s[20:21], v[7:8]
	s_and_saveexec_b32 s3, s2
	s_cbranch_execz .LBB27_8
; %bb.7:                                ;   in Loop: Header=BB27_4 Depth=1
	global_load_b64 v[5:6], v[3:4], off
.LBB27_8:                               ;   in Loop: Header=BB27_4 Depth=1
	s_wait_alu 0xfffe
	s_or_b32 exec_lo, exec_lo, s3
	v_add_co_u32 v11, s3, v18, s24
	s_wait_alu 0xf1ff
	v_add_co_ci_u32_e64 v12, null, s25, v19, s3
	v_mov_b32_e32 v7, 0
	v_mov_b32_e32 v8, 0
	s_delay_alu instid0(VALU_DEP_3)
	v_cmp_gt_u64_e64 s3, s[20:21], v[11:12]
	v_mov_b32_e32 v11, 0
	v_mov_b32_e32 v12, 0
	s_and_saveexec_b32 s5, s3
	s_cbranch_execz .LBB27_10
; %bb.9:                                ;   in Loop: Header=BB27_4 Depth=1
	v_add_co_u32 v11, s4, v1, s27
	s_wait_alu 0xf1ff
	v_add_co_ci_u32_e64 v12, null, 0, v2, s4
	global_load_b64 v[11:12], v[11:12], off
.LBB27_10:                              ;   in Loop: Header=BB27_4 Depth=1
	s_wait_alu 0xfffe
	s_or_b32 exec_lo, exec_lo, s5
	v_add_co_u32 v20, s4, v15, s24
	s_wait_alu 0xf1ff
	v_add_co_ci_u32_e64 v21, null, s25, v16, s4
	s_delay_alu instid0(VALU_DEP_1)
	v_cmp_gt_u64_e64 s4, s[20:21], v[20:21]
	s_and_saveexec_b32 s28, s4
	s_cbranch_execz .LBB27_12
; %bb.11:                               ;   in Loop: Header=BB27_4 Depth=1
	v_add_co_u32 v7, s5, v1, s22
	s_wait_alu 0xf1ff
	v_add_co_ci_u32_e64 v8, null, s23, v2, s5
	global_load_b64 v[7:8], v[7:8], off
.LBB27_12:                              ;   in Loop: Header=BB27_4 Depth=1
	s_or_b32 exec_lo, exec_lo, s28
	global_load_b64 v[20:21], v13, s[8:9]
	s_wait_loadcnt 0x0
	v_mul_lo_u32 v21, s10, v21
	v_mul_lo_u32 v22, s11, v20
	v_mul_hi_u32 v23, s10, v20
	v_mul_lo_u32 v20, s10, v20
	s_delay_alu instid0(VALU_DEP_3) | instskip(NEXT) | instid1(VALU_DEP_1)
	v_add_nc_u32_e32 v21, v21, v22
	v_add_nc_u32_e32 v21, v21, v23
	s_and_saveexec_b32 s5, vcc_lo
	s_cbranch_execnz .LBB27_16
; %bb.13:                               ;   in Loop: Header=BB27_4 Depth=1
	s_wait_alu 0xfffe
	s_or_b32 exec_lo, exec_lo, s5
	s_and_saveexec_b32 s5, s2
	s_cbranch_execnz .LBB27_17
.LBB27_14:                              ;   in Loop: Header=BB27_4 Depth=1
	s_wait_alu 0xfffe
	s_or_b32 exec_lo, exec_lo, s5
	s_and_saveexec_b32 s2, s3
	s_cbranch_execnz .LBB27_18
.LBB27_15:                              ;   in Loop: Header=BB27_4 Depth=1
	s_wait_alu 0xfffe
	s_or_b32 exec_lo, exec_lo, s2
	s_and_saveexec_b32 s2, s4
	s_cbranch_execz .LBB27_3
	s_branch .LBB27_19
.LBB27_16:                              ;   in Loop: Header=BB27_4 Depth=1
	s_delay_alu instid0(VALU_DEP_1) | instskip(NEXT) | instid1(VALU_DEP_4)
	v_mul_lo_u32 v22, v21, v9
	v_mul_lo_u32 v23, v20, v10
	v_mad_co_u64_u32 v[9:10], null, v20, v9, 0
	s_delay_alu instid0(VALU_DEP_1)
	v_add3_u32 v10, v10, v23, v22
	global_store_b64 v[1:2], v[9:10], off
	s_wait_alu 0xfffe
	s_or_b32 exec_lo, exec_lo, s5
	s_and_saveexec_b32 s5, s2
	s_cbranch_execz .LBB27_14
.LBB27_17:                              ;   in Loop: Header=BB27_4 Depth=1
	v_mul_lo_u32 v9, v21, v5
	v_mul_lo_u32 v10, v20, v6
	v_mad_co_u64_u32 v[5:6], null, v20, v5, 0
	s_delay_alu instid0(VALU_DEP_1)
	v_add3_u32 v6, v6, v10, v9
	global_store_b64 v[3:4], v[5:6], off
	s_wait_alu 0xfffe
	s_or_b32 exec_lo, exec_lo, s5
	s_and_saveexec_b32 s2, s3
	s_cbranch_execz .LBB27_15
.LBB27_18:                              ;   in Loop: Header=BB27_4 Depth=1
	v_mul_lo_u32 v9, v21, v11
	v_mul_lo_u32 v10, v20, v12
	v_mad_co_u64_u32 v[5:6], null, v20, v11, 0
	s_delay_alu instid0(VALU_DEP_1)
	v_add3_u32 v6, v6, v10, v9
	v_add_co_u32 v9, vcc_lo, v1, s27
	s_wait_alu 0xfffd
	v_add_co_ci_u32_e64 v10, null, 0, v2, vcc_lo
	global_store_b64 v[9:10], v[5:6], off
	s_wait_alu 0xfffe
	s_or_b32 exec_lo, exec_lo, s2
	s_and_saveexec_b32 s2, s4
	s_cbranch_execz .LBB27_3
.LBB27_19:                              ;   in Loop: Header=BB27_4 Depth=1
	v_mul_lo_u32 v9, v21, v7
	v_mul_lo_u32 v8, v20, v8
	v_mad_co_u64_u32 v[5:6], null, v20, v7, 0
	v_add_co_u32 v7, vcc_lo, v1, s22
	s_delay_alu instid0(VALU_DEP_2)
	v_add3_u32 v6, v6, v8, v9
	s_wait_alu 0xfffd
	v_add_co_ci_u32_e64 v8, null, s23, v2, vcc_lo
	global_store_b64 v[7:8], v[5:6], off
	s_branch .LBB27_3
.LBB27_20:
	s_cbranch_execz .LBB27_22
	s_branch .LBB27_25
.LBB27_21:
.LBB27_22:
	v_cmp_gt_i64_e64 s2, 0x10000, s[14:15]
	v_dual_mov_b32 v2, 0 :: v_dual_lshlrev_b32 v1, 2, v0
	s_mov_b32 s4, 0
	s_mov_b32 s5, exec_lo
	s_and_b32 s2, s2, exec_lo
	s_cselect_b32 s3, s15, 0
	s_cselect_b32 s2, s14, 0x10000
	s_wait_alu 0xfffe
	v_cmpx_gt_i64_e64 s[2:3], v[1:2]
	s_cbranch_execz .LBB27_25
; %bb.23:
	s_load_b32 s5, s[0:1], 0xd4c
	v_lshlrev_b32_e32 v1, 5, v0
	s_add_nc_u64 s[0:1], s[6:7], s[12:13]
	s_delay_alu instid0(VALU_DEP_1) | instid1(SALU_CYCLE_1)
	v_add_co_u32 v3, s0, s0, v1
	s_wait_alu 0xf1ff
	v_add_co_ci_u32_e64 v4, null, s1, 0, s0
	v_mov_b32_e32 v1, v2
	s_delay_alu instid0(VALU_DEP_3) | instskip(SKIP_1) | instid1(VALU_DEP_3)
	v_add_co_u32 v3, vcc_lo, v3, 16
	s_wait_alu 0xfffd
	v_add_co_ci_u32_e64 v4, null, 0, v4, vcc_lo
	s_wait_kmcnt 0x0
	s_and_b32 s1, s5, 0xffff
	s_wait_alu 0xfffe
	s_lshl_b32 s5, s1, 5
.LBB27_24:                              ; =>This Inner Loop Header: Depth=1
	global_load_b64 v[13:14], v2, s[8:9]
	s_clause 0x1
	global_load_b128 v[5:8], v[3:4], off offset:-16
	global_load_b128 v[9:12], v[3:4], off
	v_add_co_u32 v0, vcc_lo, v0, s1
	s_wait_alu 0xfffd
	v_add_co_ci_u32_e64 v1, null, 0, v1, vcc_lo
	s_delay_alu instid0(VALU_DEP_1) | instskip(NEXT) | instid1(VALU_DEP_1)
	v_lshlrev_b64_e32 v[15:16], 2, v[0:1]
	v_cmp_le_i64_e32 vcc_lo, s[2:3], v[15:16]
	s_or_b32 s4, vcc_lo, s4
	s_wait_loadcnt 0x2
	v_mul_lo_u32 v14, s10, v14
	v_mul_lo_u32 v15, s11, v13
	v_mul_hi_u32 v21, s10, v13
	v_mul_lo_u32 v19, s10, v13
	s_delay_alu instid0(VALU_DEP_3) | instskip(SKIP_1) | instid1(VALU_DEP_2)
	v_add_nc_u32_e32 v22, v14, v15
	s_wait_loadcnt 0x1
	v_mul_lo_u32 v6, v19, v6
	v_mad_co_u64_u32 v[13:14], null, v19, v5, 0
	s_delay_alu instid0(VALU_DEP_3)
	v_add_nc_u32_e32 v21, v22, v21
	v_mul_lo_u32 v8, v19, v8
	v_mad_co_u64_u32 v[15:16], null, v19, v7, 0
	s_wait_loadcnt 0x0
	v_mul_lo_u32 v10, v19, v10
	v_mul_lo_u32 v5, v21, v5
	;; [unrolled: 1-line block ×3, first 2 shown]
	v_mad_co_u64_u32 v[17:18], null, v19, v9, 0
	v_mul_lo_u32 v12, v19, v12
	v_mad_co_u64_u32 v[19:20], null, v19, v11, 0
	v_mul_lo_u32 v9, v21, v9
	v_mul_lo_u32 v11, v21, v11
	v_add3_u32 v14, v14, v6, v5
	v_add3_u32 v16, v16, v8, v7
	s_delay_alu instid0(VALU_DEP_4) | instskip(NEXT) | instid1(VALU_DEP_4)
	v_add3_u32 v18, v18, v10, v9
	v_add3_u32 v20, v20, v12, v11
	s_clause 0x1
	global_store_b128 v[3:4], v[13:16], off offset:-16
	global_store_b128 v[3:4], v[17:20], off
	s_wait_alu 0xfffe
	v_add_co_u32 v3, s0, v3, s5
	s_wait_alu 0xf1ff
	v_add_co_ci_u32_e64 v4, null, 0, v4, s0
	s_and_not1_b32 exec_lo, exec_lo, s4
	s_cbranch_execnz .LBB27_24
.LBB27_25:
	s_endpgm
	.section	.rodata,"a",@progbits
	.p2align	6, 0x0
	.amdhsa_kernel _ZN2at6native12_GLOBAL__N_125multi_tensor_apply_kernelINS1_18TensorListMetadataILi1EEENS1_27BinaryOpScalarTensorFunctorIlLi1ELi1ELi0EEEJSt10multipliesIlEPllEEEvT_T0_DpT1_
		.amdhsa_group_segment_fixed_size 0
		.amdhsa_private_segment_fixed_size 0
		.amdhsa_kernarg_size 3648
		.amdhsa_user_sgpr_count 2
		.amdhsa_user_sgpr_dispatch_ptr 0
		.amdhsa_user_sgpr_queue_ptr 0
		.amdhsa_user_sgpr_kernarg_segment_ptr 1
		.amdhsa_user_sgpr_dispatch_id 0
		.amdhsa_user_sgpr_private_segment_size 0
		.amdhsa_wavefront_size32 1
		.amdhsa_uses_dynamic_stack 0
		.amdhsa_enable_private_segment 0
		.amdhsa_system_sgpr_workgroup_id_x 1
		.amdhsa_system_sgpr_workgroup_id_y 0
		.amdhsa_system_sgpr_workgroup_id_z 0
		.amdhsa_system_sgpr_workgroup_info 0
		.amdhsa_system_vgpr_workitem_id 0
		.amdhsa_next_free_vgpr 24
		.amdhsa_next_free_sgpr 29
		.amdhsa_reserve_vcc 1
		.amdhsa_float_round_mode_32 0
		.amdhsa_float_round_mode_16_64 0
		.amdhsa_float_denorm_mode_32 3
		.amdhsa_float_denorm_mode_16_64 3
		.amdhsa_fp16_overflow 0
		.amdhsa_workgroup_processor_mode 1
		.amdhsa_memory_ordered 1
		.amdhsa_forward_progress 1
		.amdhsa_inst_pref_size 13
		.amdhsa_round_robin_scheduling 0
		.amdhsa_exception_fp_ieee_invalid_op 0
		.amdhsa_exception_fp_denorm_src 0
		.amdhsa_exception_fp_ieee_div_zero 0
		.amdhsa_exception_fp_ieee_overflow 0
		.amdhsa_exception_fp_ieee_underflow 0
		.amdhsa_exception_fp_ieee_inexact 0
		.amdhsa_exception_int_div_zero 0
	.end_amdhsa_kernel
	.section	.text._ZN2at6native12_GLOBAL__N_125multi_tensor_apply_kernelINS1_18TensorListMetadataILi1EEENS1_27BinaryOpScalarTensorFunctorIlLi1ELi1ELi0EEEJSt10multipliesIlEPllEEEvT_T0_DpT1_,"axG",@progbits,_ZN2at6native12_GLOBAL__N_125multi_tensor_apply_kernelINS1_18TensorListMetadataILi1EEENS1_27BinaryOpScalarTensorFunctorIlLi1ELi1ELi0EEEJSt10multipliesIlEPllEEEvT_T0_DpT1_,comdat
.Lfunc_end27:
	.size	_ZN2at6native12_GLOBAL__N_125multi_tensor_apply_kernelINS1_18TensorListMetadataILi1EEENS1_27BinaryOpScalarTensorFunctorIlLi1ELi1ELi0EEEJSt10multipliesIlEPllEEEvT_T0_DpT1_, .Lfunc_end27-_ZN2at6native12_GLOBAL__N_125multi_tensor_apply_kernelINS1_18TensorListMetadataILi1EEENS1_27BinaryOpScalarTensorFunctorIlLi1ELi1ELi0EEEJSt10multipliesIlEPllEEEvT_T0_DpT1_
                                        ; -- End function
	.set _ZN2at6native12_GLOBAL__N_125multi_tensor_apply_kernelINS1_18TensorListMetadataILi1EEENS1_27BinaryOpScalarTensorFunctorIlLi1ELi1ELi0EEEJSt10multipliesIlEPllEEEvT_T0_DpT1_.num_vgpr, 24
	.set _ZN2at6native12_GLOBAL__N_125multi_tensor_apply_kernelINS1_18TensorListMetadataILi1EEENS1_27BinaryOpScalarTensorFunctorIlLi1ELi1ELi0EEEJSt10multipliesIlEPllEEEvT_T0_DpT1_.num_agpr, 0
	.set _ZN2at6native12_GLOBAL__N_125multi_tensor_apply_kernelINS1_18TensorListMetadataILi1EEENS1_27BinaryOpScalarTensorFunctorIlLi1ELi1ELi0EEEJSt10multipliesIlEPllEEEvT_T0_DpT1_.numbered_sgpr, 29
	.set _ZN2at6native12_GLOBAL__N_125multi_tensor_apply_kernelINS1_18TensorListMetadataILi1EEENS1_27BinaryOpScalarTensorFunctorIlLi1ELi1ELi0EEEJSt10multipliesIlEPllEEEvT_T0_DpT1_.num_named_barrier, 0
	.set _ZN2at6native12_GLOBAL__N_125multi_tensor_apply_kernelINS1_18TensorListMetadataILi1EEENS1_27BinaryOpScalarTensorFunctorIlLi1ELi1ELi0EEEJSt10multipliesIlEPllEEEvT_T0_DpT1_.private_seg_size, 0
	.set _ZN2at6native12_GLOBAL__N_125multi_tensor_apply_kernelINS1_18TensorListMetadataILi1EEENS1_27BinaryOpScalarTensorFunctorIlLi1ELi1ELi0EEEJSt10multipliesIlEPllEEEvT_T0_DpT1_.uses_vcc, 1
	.set _ZN2at6native12_GLOBAL__N_125multi_tensor_apply_kernelINS1_18TensorListMetadataILi1EEENS1_27BinaryOpScalarTensorFunctorIlLi1ELi1ELi0EEEJSt10multipliesIlEPllEEEvT_T0_DpT1_.uses_flat_scratch, 0
	.set _ZN2at6native12_GLOBAL__N_125multi_tensor_apply_kernelINS1_18TensorListMetadataILi1EEENS1_27BinaryOpScalarTensorFunctorIlLi1ELi1ELi0EEEJSt10multipliesIlEPllEEEvT_T0_DpT1_.has_dyn_sized_stack, 0
	.set _ZN2at6native12_GLOBAL__N_125multi_tensor_apply_kernelINS1_18TensorListMetadataILi1EEENS1_27BinaryOpScalarTensorFunctorIlLi1ELi1ELi0EEEJSt10multipliesIlEPllEEEvT_T0_DpT1_.has_recursion, 0
	.set _ZN2at6native12_GLOBAL__N_125multi_tensor_apply_kernelINS1_18TensorListMetadataILi1EEENS1_27BinaryOpScalarTensorFunctorIlLi1ELi1ELi0EEEJSt10multipliesIlEPllEEEvT_T0_DpT1_.has_indirect_call, 0
	.section	.AMDGPU.csdata,"",@progbits
; Kernel info:
; codeLenInByte = 1644
; TotalNumSgprs: 31
; NumVgprs: 24
; ScratchSize: 0
; MemoryBound: 0
; FloatMode: 240
; IeeeMode: 1
; LDSByteSize: 0 bytes/workgroup (compile time only)
; SGPRBlocks: 0
; VGPRBlocks: 2
; NumSGPRsForWavesPerEU: 31
; NumVGPRsForWavesPerEU: 24
; Occupancy: 16
; WaveLimiterHint : 0
; COMPUTE_PGM_RSRC2:SCRATCH_EN: 0
; COMPUTE_PGM_RSRC2:USER_SGPR: 2
; COMPUTE_PGM_RSRC2:TRAP_HANDLER: 0
; COMPUTE_PGM_RSRC2:TGID_X_EN: 1
; COMPUTE_PGM_RSRC2:TGID_Y_EN: 0
; COMPUTE_PGM_RSRC2:TGID_Z_EN: 0
; COMPUTE_PGM_RSRC2:TIDIG_COMP_CNT: 0
	.section	.text._ZN2at6native12_GLOBAL__N_125multi_tensor_apply_kernelINS1_18TensorListMetadataILi1EEENS1_27BinaryOpScalarTensorFunctorIsLi1ELi1ELi0EEEJSt10multipliesIsEPssEEEvT_T0_DpT1_,"axG",@progbits,_ZN2at6native12_GLOBAL__N_125multi_tensor_apply_kernelINS1_18TensorListMetadataILi1EEENS1_27BinaryOpScalarTensorFunctorIsLi1ELi1ELi0EEEJSt10multipliesIsEPssEEEvT_T0_DpT1_,comdat
	.globl	_ZN2at6native12_GLOBAL__N_125multi_tensor_apply_kernelINS1_18TensorListMetadataILi1EEENS1_27BinaryOpScalarTensorFunctorIsLi1ELi1ELi0EEEJSt10multipliesIsEPssEEEvT_T0_DpT1_ ; -- Begin function _ZN2at6native12_GLOBAL__N_125multi_tensor_apply_kernelINS1_18TensorListMetadataILi1EEENS1_27BinaryOpScalarTensorFunctorIsLi1ELi1ELi0EEEJSt10multipliesIsEPssEEEvT_T0_DpT1_
	.p2align	8
	.type	_ZN2at6native12_GLOBAL__N_125multi_tensor_apply_kernelINS1_18TensorListMetadataILi1EEENS1_27BinaryOpScalarTensorFunctorIsLi1ELi1ELi0EEEJSt10multipliesIsEPssEEEvT_T0_DpT1_,@function
_ZN2at6native12_GLOBAL__N_125multi_tensor_apply_kernelINS1_18TensorListMetadataILi1EEENS1_27BinaryOpScalarTensorFunctorIsLi1ELi1ELi0EEEJSt10multipliesIsEPssEEEvT_T0_DpT1_: ; @_ZN2at6native12_GLOBAL__N_125multi_tensor_apply_kernelINS1_18TensorListMetadataILi1EEENS1_27BinaryOpScalarTensorFunctorIsLi1ELi1ELi0EEEJSt10multipliesIsEPssEEEvT_T0_DpT1_
; %bb.0:
	s_mov_b32 s2, ttmp9
	s_mov_b32 s3, 0
	s_delay_alu instid0(SALU_CYCLE_1)
	s_mul_u64 s[4:5], s[2:3], 3
	s_add_nc_u64 s[6:7], s[0:1], s[2:3]
	s_mov_b32 s17, s3
	s_add_nc_u64 s[4:5], s[6:7], s[4:5]
	s_clause 0x1
	s_load_b32 s4, s[4:5], 0x820
	s_load_u8 s2, s[0:1], ttmp9 offset:0x6e0
	s_wait_kmcnt 0x0
	s_ashr_i32 s5, s4, 31
	s_lshl_b32 s2, s2, 3
	s_clause 0x2
	s_load_b64 s[6:7], s[0:1], s2 offset:0x0
	s_load_b64 s[14:15], s[0:1], s2 offset:0x370
	s_load_b96 s[8:10], s[0:1], 0xd30
	s_lshl_b64 s[12:13], s[4:5], 17
	s_lshl_b64 s[4:5], s[4:5], 16
	s_wait_kmcnt 0x0
	s_and_b32 s2, s6, 7
	s_and_b32 s16, s14, 3
	s_sub_nc_u64 s[14:15], s[14:15], s[4:5]
	s_or_b64 s[2:3], s[2:3], s[16:17]
	s_delay_alu instid0(SALU_CYCLE_1)
	s_cmp_eq_u64 s[2:3], 0
	s_cbranch_scc1 .LBB28_21
; %bb.1:
	v_cmp_lt_i64_e64 s2, s[14:15], 1
	s_and_b32 vcc_lo, exec_lo, s2
	s_cbranch_vccnz .LBB28_20
; %bb.2:
	s_load_b32 s2, s[0:1], 0xd4c
	v_cmp_gt_i64_e64 s11, 0x10000, s[14:15]
	v_dual_mov_b32 v12, 0 :: v_dual_lshlrev_b32 v1, 1, v0
	s_add_nc_u64 s[4:5], s[6:7], s[12:13]
	v_cmp_gt_u64_e64 s18, 0x10000, s[14:15]
	v_mov_b32_e32 v5, 0
	s_delay_alu instid0(VALU_DEP_3)
	v_add_co_u32 v1, s16, s4, v1
	s_and_b32 s11, s11, exec_lo
	v_add_co_ci_u32_e64 v2, null, s5, 0, s16
	s_cselect_b32 s17, s15, 0
	s_cselect_b32 s16, s14, 0x10000
	v_mov_b32_e32 v13, 0
	s_mov_b32 s3, 0
	s_wait_kmcnt 0x0
	s_and_b32 s2, s2, 0xffff
	s_and_b32 s11, s18, exec_lo
	v_add_co_u32 v6, s24, v0, s2
	s_cselect_b32 s19, s15, 0
	s_cselect_b32 s18, s14, 0x10000
	s_lshl_b32 s11, s2, 1
	v_lshlrev_b32_e32 v3, 1, v6
	s_mul_i32 s21, s2, 3
	v_add_co_u32 v10, s11, s11, v0
	v_add_co_u32 v7, s21, s21, v0
	s_delay_alu instid0(VALU_DEP_3)
	v_add_co_u32 v3, s4, s4, v3
	s_wait_alu 0xf1ff
	v_add_co_ci_u32_e64 v8, null, 0, 0, s21
	v_add_co_ci_u32_e64 v9, null, 0, 0, s24
	;; [unrolled: 1-line block ×4, first 2 shown]
	s_lshl_b32 s20, s2, 2
	s_mul_u64 s[22:23], s[2:3], 6
	s_mov_b32 s21, s3
	s_lshl_b32 s11, s2, 3
	s_mov_b64 s[24:25], 0
	s_branch .LBB28_4
.LBB28_3:                               ;   in Loop: Header=BB28_4 Depth=1
	s_wait_alu 0xfffe
	s_or_b32 exec_lo, exec_lo, s2
	s_add_nc_u64 s[24:25], s[24:25], s[20:21]
	v_add_co_u32 v1, vcc_lo, v1, s11
	s_wait_alu 0xfffe
	v_cmp_lt_i64_e64 s2, s[24:25], s[16:17]
	s_wait_alu 0xfffd
	v_add_co_ci_u32_e64 v2, null, 0, v2, vcc_lo
	v_add_co_u32 v3, vcc_lo, v3, s11
	s_wait_alu 0xfffd
	v_add_co_ci_u32_e64 v4, null, 0, v4, vcc_lo
	s_and_b32 vcc_lo, exec_lo, s2
	s_wait_alu 0xfffe
	s_cbranch_vccz .LBB28_20
.LBB28_4:                               ; =>This Inner Loop Header: Depth=1
	s_wait_alu 0xfffe
	v_add_co_u32 v14, s2, v0, s24
	s_wait_alu 0xf1ff
	v_add_co_ci_u32_e64 v15, null, 0, s25, s2
	v_and_b32_e32 v13, 0xffff0000, v13
	s_delay_alu instid0(VALU_DEP_2)
	v_cmp_gt_u64_e32 vcc_lo, s[18:19], v[14:15]
	s_and_saveexec_b32 s2, vcc_lo
	s_cbranch_execz .LBB28_6
; %bb.5:                                ;   in Loop: Header=BB28_4 Depth=1
	global_load_d16_b16 v13, v[1:2], off
.LBB28_6:                               ;   in Loop: Header=BB28_4 Depth=1
	s_wait_alu 0xfffe
	s_or_b32 exec_lo, exec_lo, s2
	v_add_co_u32 v14, s2, v6, s24
	s_wait_alu 0xf1ff
	v_add_co_ci_u32_e64 v15, null, s25, v9, s2
	s_wait_loadcnt 0x0
	v_and_b32_e32 v13, 0xffff, v13
	s_delay_alu instid0(VALU_DEP_2)
	v_cmp_gt_u64_e64 s2, s[18:19], v[14:15]
	s_and_saveexec_b32 s3, s2
	s_cbranch_execz .LBB28_8
; %bb.7:                                ;   in Loop: Header=BB28_4 Depth=1
	global_load_d16_hi_b16 v13, v[3:4], off
.LBB28_8:                               ;   in Loop: Header=BB28_4 Depth=1
	s_wait_alu 0xfffe
	s_or_b32 exec_lo, exec_lo, s3
	v_add_co_u32 v14, s3, v10, s24
	s_wait_alu 0xf1ff
	v_add_co_ci_u32_e64 v15, null, s25, v11, s3
	v_and_b32_e32 v12, 0xffff0000, v12
	s_delay_alu instid0(VALU_DEP_2)
	v_cmp_gt_u64_e64 s3, s[18:19], v[14:15]
	s_and_saveexec_b32 s5, s3
	s_cbranch_execz .LBB28_10
; %bb.9:                                ;   in Loop: Header=BB28_4 Depth=1
	v_add_co_u32 v14, s4, v1, s20
	s_wait_alu 0xf1ff
	v_add_co_ci_u32_e64 v15, null, 0, v2, s4
	global_load_d16_b16 v12, v[14:15], off
.LBB28_10:                              ;   in Loop: Header=BB28_4 Depth=1
	s_wait_alu 0xfffe
	s_or_b32 exec_lo, exec_lo, s5
	v_add_co_u32 v14, s4, v7, s24
	s_wait_alu 0xf1ff
	v_add_co_ci_u32_e64 v15, null, s25, v8, s4
	s_wait_loadcnt 0x0
	v_and_b32_e32 v12, 0xffff, v12
	s_delay_alu instid0(VALU_DEP_2)
	v_cmp_gt_u64_e64 s4, s[18:19], v[14:15]
	s_and_saveexec_b32 s26, s4
	s_cbranch_execz .LBB28_12
; %bb.11:                               ;   in Loop: Header=BB28_4 Depth=1
	v_add_co_u32 v14, s5, v1, s22
	s_wait_alu 0xf1ff
	v_add_co_ci_u32_e64 v15, null, s23, v2, s5
	global_load_d16_hi_b16 v12, v[14:15], off
.LBB28_12:                              ;   in Loop: Header=BB28_4 Depth=1
	s_or_b32 exec_lo, exec_lo, s26
	global_load_u16 v14, v5, s[8:9]
	s_wait_loadcnt 0x0
	v_mul_lo_u32 v14, v14, s10
	s_delay_alu instid0(VALU_DEP_1)
	v_pk_mul_lo_u16 v13, v14, v13 op_sel_hi:[0,1]
	s_and_saveexec_b32 s5, vcc_lo
	s_cbranch_execnz .LBB28_16
; %bb.13:                               ;   in Loop: Header=BB28_4 Depth=1
	s_wait_alu 0xfffe
	s_or_b32 exec_lo, exec_lo, s5
	s_and_saveexec_b32 s5, s2
	s_cbranch_execnz .LBB28_17
.LBB28_14:                              ;   in Loop: Header=BB28_4 Depth=1
	s_wait_alu 0xfffe
	s_or_b32 exec_lo, exec_lo, s5
	v_pk_mul_lo_u16 v12, v14, v12 op_sel_hi:[0,1]
	s_and_saveexec_b32 s2, s3
	s_cbranch_execnz .LBB28_18
.LBB28_15:                              ;   in Loop: Header=BB28_4 Depth=1
	s_wait_alu 0xfffe
	s_or_b32 exec_lo, exec_lo, s2
	s_and_saveexec_b32 s2, s4
	s_cbranch_execz .LBB28_3
	s_branch .LBB28_19
.LBB28_16:                              ;   in Loop: Header=BB28_4 Depth=1
	global_store_b16 v[1:2], v13, off
	s_wait_alu 0xfffe
	s_or_b32 exec_lo, exec_lo, s5
	s_and_saveexec_b32 s5, s2
	s_cbranch_execz .LBB28_14
.LBB28_17:                              ;   in Loop: Header=BB28_4 Depth=1
	global_store_d16_hi_b16 v[3:4], v13, off
	s_wait_alu 0xfffe
	s_or_b32 exec_lo, exec_lo, s5
	v_pk_mul_lo_u16 v12, v14, v12 op_sel_hi:[0,1]
	s_and_saveexec_b32 s2, s3
	s_cbranch_execz .LBB28_15
.LBB28_18:                              ;   in Loop: Header=BB28_4 Depth=1
	v_add_co_u32 v14, vcc_lo, v1, s20
	s_wait_alu 0xfffd
	v_add_co_ci_u32_e64 v15, null, 0, v2, vcc_lo
	global_store_b16 v[14:15], v12, off
	s_wait_alu 0xfffe
	s_or_b32 exec_lo, exec_lo, s2
	s_and_saveexec_b32 s2, s4
	s_cbranch_execz .LBB28_3
.LBB28_19:                              ;   in Loop: Header=BB28_4 Depth=1
	v_add_co_u32 v14, vcc_lo, v1, s22
	s_wait_alu 0xfffd
	v_add_co_ci_u32_e64 v15, null, s23, v2, vcc_lo
	global_store_d16_hi_b16 v[14:15], v12, off
	s_branch .LBB28_3
.LBB28_20:
	s_cbranch_execz .LBB28_22
	s_branch .LBB28_25
.LBB28_21:
.LBB28_22:
	v_cmp_gt_i64_e64 s2, 0x10000, s[14:15]
	v_dual_mov_b32 v2, 0 :: v_dual_lshlrev_b32 v1, 2, v0
	s_mov_b32 s4, 0
	s_mov_b32 s5, exec_lo
	s_and_b32 s2, s2, exec_lo
	s_cselect_b32 s3, s15, 0
	s_cselect_b32 s2, s14, 0x10000
	s_wait_alu 0xfffe
	v_cmpx_gt_i64_e64 s[2:3], v[1:2]
	s_cbranch_execz .LBB28_25
; %bb.23:
	s_load_b32 s5, s[0:1], 0xd4c
	v_lshlrev_b32_e32 v3, 3, v0
	s_add_nc_u64 s[0:1], s[6:7], s[12:13]
	v_mov_b32_e32 v1, v2
	s_delay_alu instid0(VALU_DEP_2)
	v_add_co_u32 v3, s0, s0, v3
	s_wait_alu 0xf1ff
	v_add_co_ci_u32_e64 v4, null, s1, 0, s0
	s_wait_kmcnt 0x0
	s_and_b32 s1, s5, 0xffff
	s_wait_alu 0xfffe
	s_lshl_b32 s5, s1, 3
.LBB28_24:                              ; =>This Inner Loop Header: Depth=1
	global_load_u16 v7, v2, s[8:9]
	global_load_b64 v[5:6], v[3:4], off
	v_add_co_u32 v0, vcc_lo, v0, s1
	s_wait_alu 0xfffd
	v_add_co_ci_u32_e64 v1, null, 0, v1, vcc_lo
	s_wait_loadcnt 0x1
	v_mul_lo_u32 v9, v7, s10
	s_delay_alu instid0(VALU_DEP_2) | instskip(NEXT) | instid1(VALU_DEP_1)
	v_lshlrev_b64_e32 v[7:8], 2, v[0:1]
	v_cmp_le_i64_e32 vcc_lo, s[2:3], v[7:8]
	s_wait_loadcnt 0x0
	s_delay_alu instid0(VALU_DEP_3)
	v_pk_mul_lo_u16 v6, v9, v6 op_sel_hi:[0,1]
	v_pk_mul_lo_u16 v5, v9, v5 op_sel_hi:[0,1]
	s_or_b32 s4, vcc_lo, s4
	global_store_b64 v[3:4], v[5:6], off
	s_wait_alu 0xfffe
	v_add_co_u32 v3, s0, v3, s5
	s_wait_alu 0xf1ff
	v_add_co_ci_u32_e64 v4, null, 0, v4, s0
	s_and_not1_b32 exec_lo, exec_lo, s4
	s_cbranch_execnz .LBB28_24
.LBB28_25:
	s_endpgm
	.section	.rodata,"a",@progbits
	.p2align	6, 0x0
	.amdhsa_kernel _ZN2at6native12_GLOBAL__N_125multi_tensor_apply_kernelINS1_18TensorListMetadataILi1EEENS1_27BinaryOpScalarTensorFunctorIsLi1ELi1ELi0EEEJSt10multipliesIsEPssEEEvT_T0_DpT1_
		.amdhsa_group_segment_fixed_size 0
		.amdhsa_private_segment_fixed_size 0
		.amdhsa_kernarg_size 3648
		.amdhsa_user_sgpr_count 2
		.amdhsa_user_sgpr_dispatch_ptr 0
		.amdhsa_user_sgpr_queue_ptr 0
		.amdhsa_user_sgpr_kernarg_segment_ptr 1
		.amdhsa_user_sgpr_dispatch_id 0
		.amdhsa_user_sgpr_private_segment_size 0
		.amdhsa_wavefront_size32 1
		.amdhsa_uses_dynamic_stack 0
		.amdhsa_enable_private_segment 0
		.amdhsa_system_sgpr_workgroup_id_x 1
		.amdhsa_system_sgpr_workgroup_id_y 0
		.amdhsa_system_sgpr_workgroup_id_z 0
		.amdhsa_system_sgpr_workgroup_info 0
		.amdhsa_system_vgpr_workitem_id 0
		.amdhsa_next_free_vgpr 16
		.amdhsa_next_free_sgpr 27
		.amdhsa_reserve_vcc 1
		.amdhsa_float_round_mode_32 0
		.amdhsa_float_round_mode_16_64 0
		.amdhsa_float_denorm_mode_32 3
		.amdhsa_float_denorm_mode_16_64 3
		.amdhsa_fp16_overflow 0
		.amdhsa_workgroup_processor_mode 1
		.amdhsa_memory_ordered 1
		.amdhsa_forward_progress 1
		.amdhsa_inst_pref_size 11
		.amdhsa_round_robin_scheduling 0
		.amdhsa_exception_fp_ieee_invalid_op 0
		.amdhsa_exception_fp_denorm_src 0
		.amdhsa_exception_fp_ieee_div_zero 0
		.amdhsa_exception_fp_ieee_overflow 0
		.amdhsa_exception_fp_ieee_underflow 0
		.amdhsa_exception_fp_ieee_inexact 0
		.amdhsa_exception_int_div_zero 0
	.end_amdhsa_kernel
	.section	.text._ZN2at6native12_GLOBAL__N_125multi_tensor_apply_kernelINS1_18TensorListMetadataILi1EEENS1_27BinaryOpScalarTensorFunctorIsLi1ELi1ELi0EEEJSt10multipliesIsEPssEEEvT_T0_DpT1_,"axG",@progbits,_ZN2at6native12_GLOBAL__N_125multi_tensor_apply_kernelINS1_18TensorListMetadataILi1EEENS1_27BinaryOpScalarTensorFunctorIsLi1ELi1ELi0EEEJSt10multipliesIsEPssEEEvT_T0_DpT1_,comdat
.Lfunc_end28:
	.size	_ZN2at6native12_GLOBAL__N_125multi_tensor_apply_kernelINS1_18TensorListMetadataILi1EEENS1_27BinaryOpScalarTensorFunctorIsLi1ELi1ELi0EEEJSt10multipliesIsEPssEEEvT_T0_DpT1_, .Lfunc_end28-_ZN2at6native12_GLOBAL__N_125multi_tensor_apply_kernelINS1_18TensorListMetadataILi1EEENS1_27BinaryOpScalarTensorFunctorIsLi1ELi1ELi0EEEJSt10multipliesIsEPssEEEvT_T0_DpT1_
                                        ; -- End function
	.set _ZN2at6native12_GLOBAL__N_125multi_tensor_apply_kernelINS1_18TensorListMetadataILi1EEENS1_27BinaryOpScalarTensorFunctorIsLi1ELi1ELi0EEEJSt10multipliesIsEPssEEEvT_T0_DpT1_.num_vgpr, 16
	.set _ZN2at6native12_GLOBAL__N_125multi_tensor_apply_kernelINS1_18TensorListMetadataILi1EEENS1_27BinaryOpScalarTensorFunctorIsLi1ELi1ELi0EEEJSt10multipliesIsEPssEEEvT_T0_DpT1_.num_agpr, 0
	.set _ZN2at6native12_GLOBAL__N_125multi_tensor_apply_kernelINS1_18TensorListMetadataILi1EEENS1_27BinaryOpScalarTensorFunctorIsLi1ELi1ELi0EEEJSt10multipliesIsEPssEEEvT_T0_DpT1_.numbered_sgpr, 27
	.set _ZN2at6native12_GLOBAL__N_125multi_tensor_apply_kernelINS1_18TensorListMetadataILi1EEENS1_27BinaryOpScalarTensorFunctorIsLi1ELi1ELi0EEEJSt10multipliesIsEPssEEEvT_T0_DpT1_.num_named_barrier, 0
	.set _ZN2at6native12_GLOBAL__N_125multi_tensor_apply_kernelINS1_18TensorListMetadataILi1EEENS1_27BinaryOpScalarTensorFunctorIsLi1ELi1ELi0EEEJSt10multipliesIsEPssEEEvT_T0_DpT1_.private_seg_size, 0
	.set _ZN2at6native12_GLOBAL__N_125multi_tensor_apply_kernelINS1_18TensorListMetadataILi1EEENS1_27BinaryOpScalarTensorFunctorIsLi1ELi1ELi0EEEJSt10multipliesIsEPssEEEvT_T0_DpT1_.uses_vcc, 1
	.set _ZN2at6native12_GLOBAL__N_125multi_tensor_apply_kernelINS1_18TensorListMetadataILi1EEENS1_27BinaryOpScalarTensorFunctorIsLi1ELi1ELi0EEEJSt10multipliesIsEPssEEEvT_T0_DpT1_.uses_flat_scratch, 0
	.set _ZN2at6native12_GLOBAL__N_125multi_tensor_apply_kernelINS1_18TensorListMetadataILi1EEENS1_27BinaryOpScalarTensorFunctorIsLi1ELi1ELi0EEEJSt10multipliesIsEPssEEEvT_T0_DpT1_.has_dyn_sized_stack, 0
	.set _ZN2at6native12_GLOBAL__N_125multi_tensor_apply_kernelINS1_18TensorListMetadataILi1EEENS1_27BinaryOpScalarTensorFunctorIsLi1ELi1ELi0EEEJSt10multipliesIsEPssEEEvT_T0_DpT1_.has_recursion, 0
	.set _ZN2at6native12_GLOBAL__N_125multi_tensor_apply_kernelINS1_18TensorListMetadataILi1EEENS1_27BinaryOpScalarTensorFunctorIsLi1ELi1ELi0EEEJSt10multipliesIsEPssEEEvT_T0_DpT1_.has_indirect_call, 0
	.section	.AMDGPU.csdata,"",@progbits
; Kernel info:
; codeLenInByte = 1292
; TotalNumSgprs: 29
; NumVgprs: 16
; ScratchSize: 0
; MemoryBound: 0
; FloatMode: 240
; IeeeMode: 1
; LDSByteSize: 0 bytes/workgroup (compile time only)
; SGPRBlocks: 0
; VGPRBlocks: 1
; NumSGPRsForWavesPerEU: 29
; NumVGPRsForWavesPerEU: 16
; Occupancy: 16
; WaveLimiterHint : 0
; COMPUTE_PGM_RSRC2:SCRATCH_EN: 0
; COMPUTE_PGM_RSRC2:USER_SGPR: 2
; COMPUTE_PGM_RSRC2:TRAP_HANDLER: 0
; COMPUTE_PGM_RSRC2:TGID_X_EN: 1
; COMPUTE_PGM_RSRC2:TGID_Y_EN: 0
; COMPUTE_PGM_RSRC2:TGID_Z_EN: 0
; COMPUTE_PGM_RSRC2:TIDIG_COMP_CNT: 0
	.section	.text._ZN2at6native12_GLOBAL__N_125multi_tensor_apply_kernelINS1_18TensorListMetadataILi1EEENS1_27BinaryOpScalarTensorFunctorIdLi1ELi1ELi0EEEJSt10multipliesIdEPddEEEvT_T0_DpT1_,"axG",@progbits,_ZN2at6native12_GLOBAL__N_125multi_tensor_apply_kernelINS1_18TensorListMetadataILi1EEENS1_27BinaryOpScalarTensorFunctorIdLi1ELi1ELi0EEEJSt10multipliesIdEPddEEEvT_T0_DpT1_,comdat
	.globl	_ZN2at6native12_GLOBAL__N_125multi_tensor_apply_kernelINS1_18TensorListMetadataILi1EEENS1_27BinaryOpScalarTensorFunctorIdLi1ELi1ELi0EEEJSt10multipliesIdEPddEEEvT_T0_DpT1_ ; -- Begin function _ZN2at6native12_GLOBAL__N_125multi_tensor_apply_kernelINS1_18TensorListMetadataILi1EEENS1_27BinaryOpScalarTensorFunctorIdLi1ELi1ELi0EEEJSt10multipliesIdEPddEEEvT_T0_DpT1_
	.p2align	8
	.type	_ZN2at6native12_GLOBAL__N_125multi_tensor_apply_kernelINS1_18TensorListMetadataILi1EEENS1_27BinaryOpScalarTensorFunctorIdLi1ELi1ELi0EEEJSt10multipliesIdEPddEEEvT_T0_DpT1_,@function
_ZN2at6native12_GLOBAL__N_125multi_tensor_apply_kernelINS1_18TensorListMetadataILi1EEENS1_27BinaryOpScalarTensorFunctorIdLi1ELi1ELi0EEEJSt10multipliesIdEPddEEEvT_T0_DpT1_: ; @_ZN2at6native12_GLOBAL__N_125multi_tensor_apply_kernelINS1_18TensorListMetadataILi1EEENS1_27BinaryOpScalarTensorFunctorIdLi1ELi1ELi0EEEJSt10multipliesIdEPddEEEvT_T0_DpT1_
; %bb.0:
	s_mov_b32 s2, ttmp9
	s_mov_b32 s3, 0
	s_delay_alu instid0(SALU_CYCLE_1)
	s_mul_u64 s[4:5], s[2:3], 3
	s_add_nc_u64 s[6:7], s[0:1], s[2:3]
	s_mov_b32 s17, s3
	s_add_nc_u64 s[4:5], s[6:7], s[4:5]
	s_clause 0x1
	s_load_b32 s4, s[4:5], 0x820
	s_load_u8 s2, s[0:1], ttmp9 offset:0x6e0
	s_wait_kmcnt 0x0
	s_ashr_i32 s5, s4, 31
	s_lshl_b32 s2, s2, 3
	s_clause 0x2
	s_load_b64 s[6:7], s[0:1], s2 offset:0x0
	s_load_b64 s[14:15], s[0:1], s2 offset:0x370
	s_load_b128 s[8:11], s[0:1], 0xd30
	s_lshl_b64 s[12:13], s[4:5], 19
	s_lshl_b64 s[4:5], s[4:5], 16
	s_wait_kmcnt 0x0
	s_and_b32 s2, s6, 31
	s_and_b32 s16, s14, 3
	s_sub_nc_u64 s[14:15], s[14:15], s[4:5]
	s_or_b64 s[2:3], s[2:3], s[16:17]
	s_delay_alu instid0(SALU_CYCLE_1)
	s_cmp_eq_u64 s[2:3], 0
	s_cbranch_scc1 .LBB29_21
; %bb.1:
	v_cmp_lt_i64_e64 s2, s[14:15], 1
	s_and_b32 vcc_lo, exec_lo, s2
	s_cbranch_vccnz .LBB29_20
; %bb.2:
	s_load_b32 s2, s[0:1], 0xd4c
	v_cmp_gt_i64_e64 s16, 0x10000, s[14:15]
	v_lshlrev_b32_e32 v1, 3, v0
	s_add_nc_u64 s[4:5], s[6:7], s[12:13]
	s_mov_b32 s3, 0
	v_cmp_gt_u64_e64 s20, 0x10000, s[14:15]
	s_mov_b32 s17, s3
	v_add_co_u32 v1, s18, s4, v1
	s_and_b32 s16, s16, exec_lo
	v_add_co_ci_u32_e64 v2, null, s5, 0, s18
	s_cselect_b32 s19, s15, 0
	s_cselect_b32 s18, s14, 0x10000
	v_mov_b32_e32 v15, 0
	s_wait_kmcnt 0x0
	s_and_b32 s2, s2, 0xffff
	s_and_b32 s16, s20, exec_lo
	s_mul_u64 s[22:23], s[2:3], 24
	v_add_co_u32 v16, s3, v0, s2
	s_cselect_b32 s21, s15, 0
	s_cselect_b32 s20, s14, 0x10000
	s_lshl_b32 s24, s2, 1
	v_lshlrev_b32_e32 v3, 3, v16
	s_mul_i32 s25, s2, 3
	v_add_co_ci_u32_e64 v19, null, 0, 0, s3
	v_add_co_u32 v20, s3, s24, v0
	v_add_co_u32 v17, s25, s25, v0
	s_wait_alu 0xf1ff
	v_add_co_ci_u32_e64 v21, null, 0, 0, s3
	v_add_co_u32 v3, s3, s4, v3
	v_add_co_ci_u32_e64 v18, null, 0, 0, s25
	s_wait_alu 0xf1ff
	v_add_co_ci_u32_e64 v4, null, s5, 0, s3
	s_lshl_b32 s16, s2, 2
	s_lshl_b32 s26, s2, 5
	s_lshl_b32 s27, s2, 4
	s_mov_b64 s[24:25], 0
	s_branch .LBB29_4
.LBB29_3:                               ;   in Loop: Header=BB29_4 Depth=1
	s_wait_alu 0xfffe
	s_or_b32 exec_lo, exec_lo, s2
	s_add_nc_u64 s[24:25], s[24:25], s[16:17]
	v_add_co_u32 v1, vcc_lo, v1, s26
	s_wait_alu 0xfffe
	v_cmp_lt_i64_e64 s2, s[24:25], s[18:19]
	s_wait_alu 0xfffd
	v_add_co_ci_u32_e64 v2, null, 0, v2, vcc_lo
	v_add_co_u32 v3, vcc_lo, v3, s26
	s_wait_alu 0xfffd
	v_add_co_ci_u32_e64 v4, null, 0, v4, vcc_lo
	s_and_b32 vcc_lo, exec_lo, s2
	s_wait_alu 0xfffe
	s_cbranch_vccz .LBB29_20
.LBB29_4:                               ; =>This Inner Loop Header: Depth=1
	s_wait_alu 0xfffe
	v_add_co_u32 v7, s2, v0, s24
	s_wait_alu 0xf1ff
	v_add_co_ci_u32_e64 v8, null, 0, s25, s2
	v_mov_b32_e32 v5, 0
	v_mov_b32_e32 v6, 0
	s_delay_alu instid0(VALU_DEP_3)
	v_cmp_gt_u64_e32 vcc_lo, s[20:21], v[7:8]
	v_mov_b32_e32 v7, 0
	v_mov_b32_e32 v8, 0
	s_and_saveexec_b32 s2, vcc_lo
	s_cbranch_execz .LBB29_6
; %bb.5:                                ;   in Loop: Header=BB29_4 Depth=1
	global_load_b64 v[7:8], v[1:2], off
.LBB29_6:                               ;   in Loop: Header=BB29_4 Depth=1
	s_wait_alu 0xfffe
	s_or_b32 exec_lo, exec_lo, s2
	v_add_co_u32 v9, s2, v16, s24
	s_wait_alu 0xf1ff
	v_add_co_ci_u32_e64 v10, null, s25, v19, s2
	s_delay_alu instid0(VALU_DEP_1)
	v_cmp_gt_u64_e64 s2, s[20:21], v[9:10]
	s_and_saveexec_b32 s3, s2
	s_cbranch_execz .LBB29_8
; %bb.7:                                ;   in Loop: Header=BB29_4 Depth=1
	global_load_b64 v[5:6], v[3:4], off
.LBB29_8:                               ;   in Loop: Header=BB29_4 Depth=1
	s_wait_alu 0xfffe
	s_or_b32 exec_lo, exec_lo, s3
	v_add_co_u32 v11, s3, v20, s24
	s_wait_alu 0xf1ff
	v_add_co_ci_u32_e64 v12, null, s25, v21, s3
	v_mov_b32_e32 v9, 0
	v_mov_b32_e32 v10, 0
	s_delay_alu instid0(VALU_DEP_3)
	v_cmp_gt_u64_e64 s3, s[20:21], v[11:12]
	v_mov_b32_e32 v11, 0
	v_mov_b32_e32 v12, 0
	s_and_saveexec_b32 s5, s3
	s_cbranch_execz .LBB29_10
; %bb.9:                                ;   in Loop: Header=BB29_4 Depth=1
	v_add_co_u32 v11, s4, v1, s27
	s_wait_alu 0xf1ff
	v_add_co_ci_u32_e64 v12, null, 0, v2, s4
	global_load_b64 v[11:12], v[11:12], off
.LBB29_10:                              ;   in Loop: Header=BB29_4 Depth=1
	s_wait_alu 0xfffe
	s_or_b32 exec_lo, exec_lo, s5
	v_add_co_u32 v13, s4, v17, s24
	s_wait_alu 0xf1ff
	v_add_co_ci_u32_e64 v14, null, s25, v18, s4
	s_delay_alu instid0(VALU_DEP_1)
	v_cmp_gt_u64_e64 s4, s[20:21], v[13:14]
	s_and_saveexec_b32 s28, s4
	s_cbranch_execz .LBB29_12
; %bb.11:                               ;   in Loop: Header=BB29_4 Depth=1
	v_add_co_u32 v9, s5, v1, s22
	s_wait_alu 0xf1ff
	v_add_co_ci_u32_e64 v10, null, s23, v2, s5
	global_load_b64 v[9:10], v[9:10], off
.LBB29_12:                              ;   in Loop: Header=BB29_4 Depth=1
	s_or_b32 exec_lo, exec_lo, s28
	global_load_b64 v[13:14], v15, s[8:9]
	s_wait_loadcnt 0x0
	v_mul_f64_e32 v[13:14], s[10:11], v[13:14]
	s_and_saveexec_b32 s5, vcc_lo
	s_cbranch_execnz .LBB29_16
; %bb.13:                               ;   in Loop: Header=BB29_4 Depth=1
	s_wait_alu 0xfffe
	s_or_b32 exec_lo, exec_lo, s5
	s_and_saveexec_b32 s5, s2
	s_cbranch_execnz .LBB29_17
.LBB29_14:                              ;   in Loop: Header=BB29_4 Depth=1
	s_wait_alu 0xfffe
	s_or_b32 exec_lo, exec_lo, s5
	s_and_saveexec_b32 s2, s3
	s_cbranch_execnz .LBB29_18
.LBB29_15:                              ;   in Loop: Header=BB29_4 Depth=1
	s_wait_alu 0xfffe
	s_or_b32 exec_lo, exec_lo, s2
	s_and_saveexec_b32 s2, s4
	s_cbranch_execz .LBB29_3
	s_branch .LBB29_19
.LBB29_16:                              ;   in Loop: Header=BB29_4 Depth=1
	s_delay_alu instid0(VALU_DEP_1)
	v_mul_f64_e32 v[7:8], v[7:8], v[13:14]
	global_store_b64 v[1:2], v[7:8], off
	s_wait_alu 0xfffe
	s_or_b32 exec_lo, exec_lo, s5
	s_and_saveexec_b32 s5, s2
	s_cbranch_execz .LBB29_14
.LBB29_17:                              ;   in Loop: Header=BB29_4 Depth=1
	s_delay_alu instid0(VALU_DEP_1)
	v_mul_f64_e32 v[5:6], v[5:6], v[13:14]
	global_store_b64 v[3:4], v[5:6], off
	s_wait_alu 0xfffe
	s_or_b32 exec_lo, exec_lo, s5
	s_and_saveexec_b32 s2, s3
	s_cbranch_execz .LBB29_15
.LBB29_18:                              ;   in Loop: Header=BB29_4 Depth=1
	s_delay_alu instid0(VALU_DEP_1)
	v_mul_f64_e32 v[5:6], v[11:12], v[13:14]
	v_add_co_u32 v7, vcc_lo, v1, s27
	s_wait_alu 0xfffd
	v_add_co_ci_u32_e64 v8, null, 0, v2, vcc_lo
	global_store_b64 v[7:8], v[5:6], off
	s_wait_alu 0xfffe
	s_or_b32 exec_lo, exec_lo, s2
	s_and_saveexec_b32 s2, s4
	s_cbranch_execz .LBB29_3
.LBB29_19:                              ;   in Loop: Header=BB29_4 Depth=1
	s_delay_alu instid0(VALU_DEP_1)
	v_mul_f64_e32 v[5:6], v[9:10], v[13:14]
	v_add_co_u32 v7, vcc_lo, v1, s22
	s_wait_alu 0xfffd
	v_add_co_ci_u32_e64 v8, null, s23, v2, vcc_lo
	global_store_b64 v[7:8], v[5:6], off
	s_branch .LBB29_3
.LBB29_20:
	s_cbranch_execz .LBB29_22
	s_branch .LBB29_25
.LBB29_21:
.LBB29_22:
	v_cmp_gt_i64_e64 s2, 0x10000, s[14:15]
	v_dual_mov_b32 v2, 0 :: v_dual_lshlrev_b32 v1, 2, v0
	s_mov_b32 s4, 0
	s_mov_b32 s5, exec_lo
	s_and_b32 s2, s2, exec_lo
	s_cselect_b32 s3, s15, 0
	s_cselect_b32 s2, s14, 0x10000
	s_wait_alu 0xfffe
	v_cmpx_gt_i64_e64 s[2:3], v[1:2]
	s_cbranch_execz .LBB29_25
; %bb.23:
	s_load_b32 s5, s[0:1], 0xd4c
	v_lshlrev_b32_e32 v1, 5, v0
	s_add_nc_u64 s[0:1], s[6:7], s[12:13]
	s_delay_alu instid0(VALU_DEP_1) | instid1(SALU_CYCLE_1)
	v_add_co_u32 v3, s0, s0, v1
	s_wait_alu 0xf1ff
	v_add_co_ci_u32_e64 v4, null, s1, 0, s0
	v_mov_b32_e32 v1, v2
	s_delay_alu instid0(VALU_DEP_3) | instskip(SKIP_1) | instid1(VALU_DEP_3)
	v_add_co_u32 v3, vcc_lo, v3, 16
	s_wait_alu 0xfffd
	v_add_co_ci_u32_e64 v4, null, 0, v4, vcc_lo
	s_wait_kmcnt 0x0
	s_and_b32 s1, s5, 0xffff
	s_wait_alu 0xfffe
	s_lshl_b32 s5, s1, 5
.LBB29_24:                              ; =>This Inner Loop Header: Depth=1
	global_load_b64 v[13:14], v2, s[8:9]
	s_clause 0x1
	global_load_b128 v[5:8], v[3:4], off offset:-16
	global_load_b128 v[9:12], v[3:4], off
	v_add_co_u32 v0, vcc_lo, v0, s1
	s_wait_alu 0xfffd
	v_add_co_ci_u32_e64 v1, null, 0, v1, vcc_lo
	s_wait_loadcnt 0x2
	v_mul_f64_e32 v[13:14], s[10:11], v[13:14]
	s_wait_loadcnt 0x1
	s_delay_alu instid0(VALU_DEP_1)
	v_mul_f64_e32 v[5:6], v[5:6], v[13:14]
	v_mul_f64_e32 v[7:8], v[7:8], v[13:14]
	s_wait_loadcnt 0x0
	v_mul_f64_e32 v[9:10], v[9:10], v[13:14]
	v_mul_f64_e32 v[11:12], v[11:12], v[13:14]
	v_lshlrev_b64_e32 v[13:14], 2, v[0:1]
	s_clause 0x1
	global_store_b128 v[3:4], v[5:8], off offset:-16
	global_store_b128 v[3:4], v[9:12], off
	v_cmp_le_i64_e32 vcc_lo, s[2:3], v[13:14]
	s_wait_alu 0xfffe
	v_add_co_u32 v3, s0, v3, s5
	s_wait_alu 0xf1ff
	v_add_co_ci_u32_e64 v4, null, 0, v4, s0
	s_or_b32 s4, vcc_lo, s4
	s_wait_alu 0xfffe
	s_and_not1_b32 exec_lo, exec_lo, s4
	s_cbranch_execnz .LBB29_24
.LBB29_25:
	s_endpgm
	.section	.rodata,"a",@progbits
	.p2align	6, 0x0
	.amdhsa_kernel _ZN2at6native12_GLOBAL__N_125multi_tensor_apply_kernelINS1_18TensorListMetadataILi1EEENS1_27BinaryOpScalarTensorFunctorIdLi1ELi1ELi0EEEJSt10multipliesIdEPddEEEvT_T0_DpT1_
		.amdhsa_group_segment_fixed_size 0
		.amdhsa_private_segment_fixed_size 0
		.amdhsa_kernarg_size 3648
		.amdhsa_user_sgpr_count 2
		.amdhsa_user_sgpr_dispatch_ptr 0
		.amdhsa_user_sgpr_queue_ptr 0
		.amdhsa_user_sgpr_kernarg_segment_ptr 1
		.amdhsa_user_sgpr_dispatch_id 0
		.amdhsa_user_sgpr_private_segment_size 0
		.amdhsa_wavefront_size32 1
		.amdhsa_uses_dynamic_stack 0
		.amdhsa_enable_private_segment 0
		.amdhsa_system_sgpr_workgroup_id_x 1
		.amdhsa_system_sgpr_workgroup_id_y 0
		.amdhsa_system_sgpr_workgroup_id_z 0
		.amdhsa_system_sgpr_workgroup_info 0
		.amdhsa_system_vgpr_workitem_id 0
		.amdhsa_next_free_vgpr 22
		.amdhsa_next_free_sgpr 29
		.amdhsa_reserve_vcc 1
		.amdhsa_float_round_mode_32 0
		.amdhsa_float_round_mode_16_64 0
		.amdhsa_float_denorm_mode_32 3
		.amdhsa_float_denorm_mode_16_64 3
		.amdhsa_fp16_overflow 0
		.amdhsa_workgroup_processor_mode 1
		.amdhsa_memory_ordered 1
		.amdhsa_forward_progress 1
		.amdhsa_inst_pref_size 11
		.amdhsa_round_robin_scheduling 0
		.amdhsa_exception_fp_ieee_invalid_op 0
		.amdhsa_exception_fp_denorm_src 0
		.amdhsa_exception_fp_ieee_div_zero 0
		.amdhsa_exception_fp_ieee_overflow 0
		.amdhsa_exception_fp_ieee_underflow 0
		.amdhsa_exception_fp_ieee_inexact 0
		.amdhsa_exception_int_div_zero 0
	.end_amdhsa_kernel
	.section	.text._ZN2at6native12_GLOBAL__N_125multi_tensor_apply_kernelINS1_18TensorListMetadataILi1EEENS1_27BinaryOpScalarTensorFunctorIdLi1ELi1ELi0EEEJSt10multipliesIdEPddEEEvT_T0_DpT1_,"axG",@progbits,_ZN2at6native12_GLOBAL__N_125multi_tensor_apply_kernelINS1_18TensorListMetadataILi1EEENS1_27BinaryOpScalarTensorFunctorIdLi1ELi1ELi0EEEJSt10multipliesIdEPddEEEvT_T0_DpT1_,comdat
.Lfunc_end29:
	.size	_ZN2at6native12_GLOBAL__N_125multi_tensor_apply_kernelINS1_18TensorListMetadataILi1EEENS1_27BinaryOpScalarTensorFunctorIdLi1ELi1ELi0EEEJSt10multipliesIdEPddEEEvT_T0_DpT1_, .Lfunc_end29-_ZN2at6native12_GLOBAL__N_125multi_tensor_apply_kernelINS1_18TensorListMetadataILi1EEENS1_27BinaryOpScalarTensorFunctorIdLi1ELi1ELi0EEEJSt10multipliesIdEPddEEEvT_T0_DpT1_
                                        ; -- End function
	.set _ZN2at6native12_GLOBAL__N_125multi_tensor_apply_kernelINS1_18TensorListMetadataILi1EEENS1_27BinaryOpScalarTensorFunctorIdLi1ELi1ELi0EEEJSt10multipliesIdEPddEEEvT_T0_DpT1_.num_vgpr, 22
	.set _ZN2at6native12_GLOBAL__N_125multi_tensor_apply_kernelINS1_18TensorListMetadataILi1EEENS1_27BinaryOpScalarTensorFunctorIdLi1ELi1ELi0EEEJSt10multipliesIdEPddEEEvT_T0_DpT1_.num_agpr, 0
	.set _ZN2at6native12_GLOBAL__N_125multi_tensor_apply_kernelINS1_18TensorListMetadataILi1EEENS1_27BinaryOpScalarTensorFunctorIdLi1ELi1ELi0EEEJSt10multipliesIdEPddEEEvT_T0_DpT1_.numbered_sgpr, 29
	.set _ZN2at6native12_GLOBAL__N_125multi_tensor_apply_kernelINS1_18TensorListMetadataILi1EEENS1_27BinaryOpScalarTensorFunctorIdLi1ELi1ELi0EEEJSt10multipliesIdEPddEEEvT_T0_DpT1_.num_named_barrier, 0
	.set _ZN2at6native12_GLOBAL__N_125multi_tensor_apply_kernelINS1_18TensorListMetadataILi1EEENS1_27BinaryOpScalarTensorFunctorIdLi1ELi1ELi0EEEJSt10multipliesIdEPddEEEvT_T0_DpT1_.private_seg_size, 0
	.set _ZN2at6native12_GLOBAL__N_125multi_tensor_apply_kernelINS1_18TensorListMetadataILi1EEENS1_27BinaryOpScalarTensorFunctorIdLi1ELi1ELi0EEEJSt10multipliesIdEPddEEEvT_T0_DpT1_.uses_vcc, 1
	.set _ZN2at6native12_GLOBAL__N_125multi_tensor_apply_kernelINS1_18TensorListMetadataILi1EEENS1_27BinaryOpScalarTensorFunctorIdLi1ELi1ELi0EEEJSt10multipliesIdEPddEEEvT_T0_DpT1_.uses_flat_scratch, 0
	.set _ZN2at6native12_GLOBAL__N_125multi_tensor_apply_kernelINS1_18TensorListMetadataILi1EEENS1_27BinaryOpScalarTensorFunctorIdLi1ELi1ELi0EEEJSt10multipliesIdEPddEEEvT_T0_DpT1_.has_dyn_sized_stack, 0
	.set _ZN2at6native12_GLOBAL__N_125multi_tensor_apply_kernelINS1_18TensorListMetadataILi1EEENS1_27BinaryOpScalarTensorFunctorIdLi1ELi1ELi0EEEJSt10multipliesIdEPddEEEvT_T0_DpT1_.has_recursion, 0
	.set _ZN2at6native12_GLOBAL__N_125multi_tensor_apply_kernelINS1_18TensorListMetadataILi1EEENS1_27BinaryOpScalarTensorFunctorIdLi1ELi1ELi0EEEJSt10multipliesIdEPddEEEvT_T0_DpT1_.has_indirect_call, 0
	.section	.AMDGPU.csdata,"",@progbits
; Kernel info:
; codeLenInByte = 1332
; TotalNumSgprs: 31
; NumVgprs: 22
; ScratchSize: 0
; MemoryBound: 0
; FloatMode: 240
; IeeeMode: 1
; LDSByteSize: 0 bytes/workgroup (compile time only)
; SGPRBlocks: 0
; VGPRBlocks: 2
; NumSGPRsForWavesPerEU: 31
; NumVGPRsForWavesPerEU: 22
; Occupancy: 16
; WaveLimiterHint : 0
; COMPUTE_PGM_RSRC2:SCRATCH_EN: 0
; COMPUTE_PGM_RSRC2:USER_SGPR: 2
; COMPUTE_PGM_RSRC2:TRAP_HANDLER: 0
; COMPUTE_PGM_RSRC2:TGID_X_EN: 1
; COMPUTE_PGM_RSRC2:TGID_Y_EN: 0
; COMPUTE_PGM_RSRC2:TGID_Z_EN: 0
; COMPUTE_PGM_RSRC2:TIDIG_COMP_CNT: 0
	.section	.text._ZN2at6native12_GLOBAL__N_125multi_tensor_apply_kernelINS1_18TensorListMetadataILi1EEENS1_27BinaryOpScalarTensorFunctorIfLi1ELi1ELi0EEEJSt10multipliesIfEPffEEEvT_T0_DpT1_,"axG",@progbits,_ZN2at6native12_GLOBAL__N_125multi_tensor_apply_kernelINS1_18TensorListMetadataILi1EEENS1_27BinaryOpScalarTensorFunctorIfLi1ELi1ELi0EEEJSt10multipliesIfEPffEEEvT_T0_DpT1_,comdat
	.globl	_ZN2at6native12_GLOBAL__N_125multi_tensor_apply_kernelINS1_18TensorListMetadataILi1EEENS1_27BinaryOpScalarTensorFunctorIfLi1ELi1ELi0EEEJSt10multipliesIfEPffEEEvT_T0_DpT1_ ; -- Begin function _ZN2at6native12_GLOBAL__N_125multi_tensor_apply_kernelINS1_18TensorListMetadataILi1EEENS1_27BinaryOpScalarTensorFunctorIfLi1ELi1ELi0EEEJSt10multipliesIfEPffEEEvT_T0_DpT1_
	.p2align	8
	.type	_ZN2at6native12_GLOBAL__N_125multi_tensor_apply_kernelINS1_18TensorListMetadataILi1EEENS1_27BinaryOpScalarTensorFunctorIfLi1ELi1ELi0EEEJSt10multipliesIfEPffEEEvT_T0_DpT1_,@function
_ZN2at6native12_GLOBAL__N_125multi_tensor_apply_kernelINS1_18TensorListMetadataILi1EEENS1_27BinaryOpScalarTensorFunctorIfLi1ELi1ELi0EEEJSt10multipliesIfEPffEEEvT_T0_DpT1_: ; @_ZN2at6native12_GLOBAL__N_125multi_tensor_apply_kernelINS1_18TensorListMetadataILi1EEENS1_27BinaryOpScalarTensorFunctorIfLi1ELi1ELi0EEEJSt10multipliesIfEPffEEEvT_T0_DpT1_
; %bb.0:
	s_mov_b32 s2, ttmp9
	s_mov_b32 s3, 0
	s_delay_alu instid0(SALU_CYCLE_1)
	s_mul_u64 s[4:5], s[2:3], 3
	s_add_nc_u64 s[6:7], s[0:1], s[2:3]
	s_mov_b32 s17, s3
	s_add_nc_u64 s[4:5], s[6:7], s[4:5]
	s_clause 0x1
	s_load_b32 s4, s[4:5], 0x820
	s_load_u8 s2, s[0:1], ttmp9 offset:0x6e0
	s_wait_kmcnt 0x0
	s_ashr_i32 s5, s4, 31
	s_lshl_b32 s2, s2, 3
	s_clause 0x2
	s_load_b64 s[6:7], s[0:1], s2 offset:0x0
	s_load_b64 s[14:15], s[0:1], s2 offset:0x370
	s_load_b96 s[8:10], s[0:1], 0xd30
	s_lshl_b64 s[12:13], s[4:5], 18
	s_lshl_b64 s[4:5], s[4:5], 16
	s_wait_kmcnt 0x0
	s_and_b32 s2, s6, 15
	s_and_b32 s16, s14, 3
	s_sub_nc_u64 s[14:15], s[14:15], s[4:5]
	s_or_b64 s[2:3], s[2:3], s[16:17]
	s_delay_alu instid0(SALU_CYCLE_1)
	s_cmp_eq_u64 s[2:3], 0
	s_cbranch_scc1 .LBB30_21
; %bb.1:
	v_cmp_lt_i64_e64 s2, s[14:15], 1
	s_and_b32 vcc_lo, exec_lo, s2
	s_cbranch_vccnz .LBB30_20
; %bb.2:
	s_load_b32 s2, s[0:1], 0xd4c
	v_cmp_gt_i64_e64 s11, 0x10000, s[14:15]
	v_lshlrev_b32_e32 v1, 2, v0
	s_add_nc_u64 s[4:5], s[6:7], s[12:13]
	s_mov_b32 s3, 0
	v_cmp_gt_u64_e64 s16, 0x10000, s[14:15]
	s_mov_b32 s17, s3
	v_add_co_u32 v1, s18, s4, v1
	s_and_b32 s11, s11, exec_lo
	v_add_co_ci_u32_e64 v2, null, s5, 0, s18
	s_cselect_b32 s19, s15, 0
	s_cselect_b32 s18, s14, 0x10000
	v_mov_b32_e32 v5, 0
	s_wait_kmcnt 0x0
	s_and_b32 s2, s2, 0xffff
	s_and_b32 s11, s16, exec_lo
	s_mul_u64 s[22:23], s[2:3], 12
	v_add_co_u32 v6, s3, v0, s2
	s_cselect_b32 s21, s15, 0
	s_cselect_b32 s20, s14, 0x10000
	s_lshl_b32 s11, s2, 1
	v_lshlrev_b32_e32 v3, 2, v6
	s_mul_i32 s24, s2, 3
	v_add_co_ci_u32_e64 v9, null, 0, 0, s3
	v_add_co_u32 v10, s3, s11, v0
	v_add_co_u32 v7, s24, s24, v0
	s_wait_alu 0xf1ff
	v_add_co_ci_u32_e64 v11, null, 0, 0, s3
	v_add_co_u32 v3, s3, s4, v3
	v_add_co_ci_u32_e64 v8, null, 0, 0, s24
	s_wait_alu 0xf1ff
	v_add_co_ci_u32_e64 v4, null, s5, 0, s3
	s_lshl_b32 s16, s2, 2
	s_lshl_b32 s11, s2, 4
	;; [unrolled: 1-line block ×3, first 2 shown]
	s_mov_b64 s[24:25], 0
	s_branch .LBB30_4
.LBB30_3:                               ;   in Loop: Header=BB30_4 Depth=1
	s_wait_alu 0xfffe
	s_or_b32 exec_lo, exec_lo, s2
	s_add_nc_u64 s[24:25], s[24:25], s[16:17]
	v_add_co_u32 v1, vcc_lo, v1, s11
	s_wait_alu 0xfffe
	v_cmp_lt_i64_e64 s2, s[24:25], s[18:19]
	s_wait_alu 0xfffd
	v_add_co_ci_u32_e64 v2, null, 0, v2, vcc_lo
	v_add_co_u32 v3, vcc_lo, v3, s11
	s_wait_alu 0xfffd
	v_add_co_ci_u32_e64 v4, null, 0, v4, vcc_lo
	s_and_b32 vcc_lo, exec_lo, s2
	s_wait_alu 0xfffe
	s_cbranch_vccz .LBB30_20
.LBB30_4:                               ; =>This Inner Loop Header: Depth=1
	s_wait_alu 0xfffe
	v_add_co_u32 v12, s2, v0, s24
	s_wait_alu 0xf1ff
	v_add_co_ci_u32_e64 v13, null, 0, s25, s2
	s_delay_alu instid0(VALU_DEP_1)
	v_cmp_gt_u64_e32 vcc_lo, s[20:21], v[12:13]
	v_mov_b32_e32 v12, 0
	s_and_saveexec_b32 s2, vcc_lo
	s_cbranch_execz .LBB30_6
; %bb.5:                                ;   in Loop: Header=BB30_4 Depth=1
	global_load_b32 v12, v[1:2], off
.LBB30_6:                               ;   in Loop: Header=BB30_4 Depth=1
	s_wait_alu 0xfffe
	s_or_b32 exec_lo, exec_lo, s2
	v_add_co_u32 v13, s2, v6, s24
	s_wait_alu 0xf1ff
	v_add_co_ci_u32_e64 v14, null, s25, v9, s2
	s_delay_alu instid0(VALU_DEP_1)
	v_cmp_gt_u64_e64 s2, s[20:21], v[13:14]
	v_dual_mov_b32 v13, 0 :: v_dual_mov_b32 v14, 0
	s_and_saveexec_b32 s3, s2
	s_cbranch_execz .LBB30_8
; %bb.7:                                ;   in Loop: Header=BB30_4 Depth=1
	global_load_b32 v14, v[3:4], off
.LBB30_8:                               ;   in Loop: Header=BB30_4 Depth=1
	s_wait_alu 0xfffe
	s_or_b32 exec_lo, exec_lo, s3
	v_add_co_u32 v15, s3, v10, s24
	s_wait_alu 0xf1ff
	v_add_co_ci_u32_e64 v16, null, s25, v11, s3
	s_delay_alu instid0(VALU_DEP_1)
	v_cmp_gt_u64_e64 s3, s[20:21], v[15:16]
	s_and_saveexec_b32 s5, s3
	s_cbranch_execz .LBB30_10
; %bb.9:                                ;   in Loop: Header=BB30_4 Depth=1
	v_add_co_u32 v15, s4, v1, s26
	s_wait_alu 0xf1ff
	v_add_co_ci_u32_e64 v16, null, 0, v2, s4
	global_load_b32 v13, v[15:16], off
.LBB30_10:                              ;   in Loop: Header=BB30_4 Depth=1
	s_wait_alu 0xfffe
	s_or_b32 exec_lo, exec_lo, s5
	v_add_co_u32 v15, s4, v7, s24
	s_wait_alu 0xf1ff
	v_add_co_ci_u32_e64 v16, null, s25, v8, s4
	s_delay_alu instid0(VALU_DEP_1)
	v_cmp_gt_u64_e64 s4, s[20:21], v[15:16]
	v_mov_b32_e32 v15, 0
	s_and_saveexec_b32 s27, s4
	s_cbranch_execz .LBB30_12
; %bb.11:                               ;   in Loop: Header=BB30_4 Depth=1
	v_add_co_u32 v15, s5, v1, s22
	s_wait_alu 0xf1ff
	v_add_co_ci_u32_e64 v16, null, s23, v2, s5
	global_load_b32 v15, v[15:16], off
.LBB30_12:                              ;   in Loop: Header=BB30_4 Depth=1
	s_wait_alu 0xfffe
	s_or_b32 exec_lo, exec_lo, s27
	global_load_b32 v16, v5, s[8:9]
	s_wait_loadcnt 0x0
	v_mul_f32_e32 v16, s10, v16
	s_and_saveexec_b32 s5, vcc_lo
	s_cbranch_execnz .LBB30_16
; %bb.13:                               ;   in Loop: Header=BB30_4 Depth=1
	s_wait_alu 0xfffe
	s_or_b32 exec_lo, exec_lo, s5
	s_and_saveexec_b32 s5, s2
	s_cbranch_execnz .LBB30_17
.LBB30_14:                              ;   in Loop: Header=BB30_4 Depth=1
	s_wait_alu 0xfffe
	s_or_b32 exec_lo, exec_lo, s5
	s_and_saveexec_b32 s2, s3
	s_cbranch_execnz .LBB30_18
.LBB30_15:                              ;   in Loop: Header=BB30_4 Depth=1
	s_wait_alu 0xfffe
	s_or_b32 exec_lo, exec_lo, s2
	s_and_saveexec_b32 s2, s4
	s_cbranch_execz .LBB30_3
	s_branch .LBB30_19
.LBB30_16:                              ;   in Loop: Header=BB30_4 Depth=1
	s_delay_alu instid0(VALU_DEP_1)
	v_mul_f32_e32 v12, v12, v16
	global_store_b32 v[1:2], v12, off
	s_wait_alu 0xfffe
	s_or_b32 exec_lo, exec_lo, s5
	s_and_saveexec_b32 s5, s2
	s_cbranch_execz .LBB30_14
.LBB30_17:                              ;   in Loop: Header=BB30_4 Depth=1
	v_mul_f32_e32 v12, v14, v16
	global_store_b32 v[3:4], v12, off
	s_wait_alu 0xfffe
	s_or_b32 exec_lo, exec_lo, s5
	s_and_saveexec_b32 s2, s3
	s_cbranch_execz .LBB30_15
.LBB30_18:                              ;   in Loop: Header=BB30_4 Depth=1
	v_add_co_u32 v12, vcc_lo, v1, s26
	v_mul_f32_e32 v14, v13, v16
	s_wait_alu 0xfffd
	v_add_co_ci_u32_e64 v13, null, 0, v2, vcc_lo
	global_store_b32 v[12:13], v14, off
	s_wait_alu 0xfffe
	s_or_b32 exec_lo, exec_lo, s2
	s_and_saveexec_b32 s2, s4
	s_cbranch_execz .LBB30_3
.LBB30_19:                              ;   in Loop: Header=BB30_4 Depth=1
	v_add_co_u32 v12, vcc_lo, v1, s22
	v_mul_f32_e32 v14, v15, v16
	s_wait_alu 0xfffd
	v_add_co_ci_u32_e64 v13, null, s23, v2, vcc_lo
	global_store_b32 v[12:13], v14, off
	s_branch .LBB30_3
.LBB30_20:
	s_cbranch_execz .LBB30_22
	s_branch .LBB30_25
.LBB30_21:
.LBB30_22:
	v_cmp_gt_i64_e64 s2, 0x10000, s[14:15]
	v_dual_mov_b32 v2, 0 :: v_dual_lshlrev_b32 v1, 2, v0
	s_mov_b32 s4, 0
	s_mov_b32 s5, exec_lo
	s_and_b32 s2, s2, exec_lo
	s_cselect_b32 s3, s15, 0
	s_cselect_b32 s2, s14, 0x10000
	s_wait_alu 0xfffe
	v_cmpx_gt_i64_e64 s[2:3], v[1:2]
	s_cbranch_execz .LBB30_25
; %bb.23:
	s_load_b32 s5, s[0:1], 0xd4c
	v_lshlrev_b32_e32 v1, 4, v0
	s_add_nc_u64 s[0:1], s[6:7], s[12:13]
	s_delay_alu instid0(VALU_DEP_1) | instid1(SALU_CYCLE_1)
	v_add_co_u32 v3, s0, s0, v1
	s_wait_alu 0xf1ff
	v_add_co_ci_u32_e64 v4, null, s1, 0, s0
	v_mov_b32_e32 v1, v2
	s_delay_alu instid0(VALU_DEP_3) | instskip(SKIP_1) | instid1(VALU_DEP_3)
	v_add_co_u32 v3, vcc_lo, v3, 8
	s_wait_alu 0xfffd
	v_add_co_ci_u32_e64 v4, null, 0, v4, vcc_lo
	s_wait_kmcnt 0x0
	s_and_b32 s1, s5, 0xffff
	s_wait_alu 0xfffe
	s_lshl_b32 s5, s1, 4
.LBB30_24:                              ; =>This Inner Loop Header: Depth=1
	global_load_b32 v11, v2, s[8:9]
	global_load_b128 v[5:8], v[3:4], off offset:-8
	v_add_co_u32 v0, vcc_lo, v0, s1
	s_wait_alu 0xfffd
	v_add_co_ci_u32_e64 v1, null, 0, v1, vcc_lo
	s_delay_alu instid0(VALU_DEP_1) | instskip(NEXT) | instid1(VALU_DEP_1)
	v_lshlrev_b64_e32 v[9:10], 2, v[0:1]
	v_cmp_le_i64_e32 vcc_lo, s[2:3], v[9:10]
	s_or_b32 s4, vcc_lo, s4
	s_wait_loadcnt 0x1
	v_mul_f32_e32 v9, s10, v11
	s_wait_loadcnt 0x0
	s_delay_alu instid0(VALU_DEP_1)
	v_mul_f32_e32 v5, v5, v9
	v_mul_f32_e32 v6, v6, v9
	;; [unrolled: 1-line block ×4, first 2 shown]
	global_store_b128 v[3:4], v[5:8], off offset:-8
	s_wait_alu 0xfffe
	v_add_co_u32 v3, s0, v3, s5
	s_wait_alu 0xf1ff
	v_add_co_ci_u32_e64 v4, null, 0, v4, s0
	s_and_not1_b32 exec_lo, exec_lo, s4
	s_cbranch_execnz .LBB30_24
.LBB30_25:
	s_endpgm
	.section	.rodata,"a",@progbits
	.p2align	6, 0x0
	.amdhsa_kernel _ZN2at6native12_GLOBAL__N_125multi_tensor_apply_kernelINS1_18TensorListMetadataILi1EEENS1_27BinaryOpScalarTensorFunctorIfLi1ELi1ELi0EEEJSt10multipliesIfEPffEEEvT_T0_DpT1_
		.amdhsa_group_segment_fixed_size 0
		.amdhsa_private_segment_fixed_size 0
		.amdhsa_kernarg_size 3648
		.amdhsa_user_sgpr_count 2
		.amdhsa_user_sgpr_dispatch_ptr 0
		.amdhsa_user_sgpr_queue_ptr 0
		.amdhsa_user_sgpr_kernarg_segment_ptr 1
		.amdhsa_user_sgpr_dispatch_id 0
		.amdhsa_user_sgpr_private_segment_size 0
		.amdhsa_wavefront_size32 1
		.amdhsa_uses_dynamic_stack 0
		.amdhsa_enable_private_segment 0
		.amdhsa_system_sgpr_workgroup_id_x 1
		.amdhsa_system_sgpr_workgroup_id_y 0
		.amdhsa_system_sgpr_workgroup_id_z 0
		.amdhsa_system_sgpr_workgroup_info 0
		.amdhsa_system_vgpr_workitem_id 0
		.amdhsa_next_free_vgpr 17
		.amdhsa_next_free_sgpr 28
		.amdhsa_reserve_vcc 1
		.amdhsa_float_round_mode_32 0
		.amdhsa_float_round_mode_16_64 0
		.amdhsa_float_denorm_mode_32 3
		.amdhsa_float_denorm_mode_16_64 3
		.amdhsa_fp16_overflow 0
		.amdhsa_workgroup_processor_mode 1
		.amdhsa_memory_ordered 1
		.amdhsa_forward_progress 1
		.amdhsa_inst_pref_size 10
		.amdhsa_round_robin_scheduling 0
		.amdhsa_exception_fp_ieee_invalid_op 0
		.amdhsa_exception_fp_denorm_src 0
		.amdhsa_exception_fp_ieee_div_zero 0
		.amdhsa_exception_fp_ieee_overflow 0
		.amdhsa_exception_fp_ieee_underflow 0
		.amdhsa_exception_fp_ieee_inexact 0
		.amdhsa_exception_int_div_zero 0
	.end_amdhsa_kernel
	.section	.text._ZN2at6native12_GLOBAL__N_125multi_tensor_apply_kernelINS1_18TensorListMetadataILi1EEENS1_27BinaryOpScalarTensorFunctorIfLi1ELi1ELi0EEEJSt10multipliesIfEPffEEEvT_T0_DpT1_,"axG",@progbits,_ZN2at6native12_GLOBAL__N_125multi_tensor_apply_kernelINS1_18TensorListMetadataILi1EEENS1_27BinaryOpScalarTensorFunctorIfLi1ELi1ELi0EEEJSt10multipliesIfEPffEEEvT_T0_DpT1_,comdat
.Lfunc_end30:
	.size	_ZN2at6native12_GLOBAL__N_125multi_tensor_apply_kernelINS1_18TensorListMetadataILi1EEENS1_27BinaryOpScalarTensorFunctorIfLi1ELi1ELi0EEEJSt10multipliesIfEPffEEEvT_T0_DpT1_, .Lfunc_end30-_ZN2at6native12_GLOBAL__N_125multi_tensor_apply_kernelINS1_18TensorListMetadataILi1EEENS1_27BinaryOpScalarTensorFunctorIfLi1ELi1ELi0EEEJSt10multipliesIfEPffEEEvT_T0_DpT1_
                                        ; -- End function
	.set _ZN2at6native12_GLOBAL__N_125multi_tensor_apply_kernelINS1_18TensorListMetadataILi1EEENS1_27BinaryOpScalarTensorFunctorIfLi1ELi1ELi0EEEJSt10multipliesIfEPffEEEvT_T0_DpT1_.num_vgpr, 17
	.set _ZN2at6native12_GLOBAL__N_125multi_tensor_apply_kernelINS1_18TensorListMetadataILi1EEENS1_27BinaryOpScalarTensorFunctorIfLi1ELi1ELi0EEEJSt10multipliesIfEPffEEEvT_T0_DpT1_.num_agpr, 0
	.set _ZN2at6native12_GLOBAL__N_125multi_tensor_apply_kernelINS1_18TensorListMetadataILi1EEENS1_27BinaryOpScalarTensorFunctorIfLi1ELi1ELi0EEEJSt10multipliesIfEPffEEEvT_T0_DpT1_.numbered_sgpr, 28
	.set _ZN2at6native12_GLOBAL__N_125multi_tensor_apply_kernelINS1_18TensorListMetadataILi1EEENS1_27BinaryOpScalarTensorFunctorIfLi1ELi1ELi0EEEJSt10multipliesIfEPffEEEvT_T0_DpT1_.num_named_barrier, 0
	.set _ZN2at6native12_GLOBAL__N_125multi_tensor_apply_kernelINS1_18TensorListMetadataILi1EEENS1_27BinaryOpScalarTensorFunctorIfLi1ELi1ELi0EEEJSt10multipliesIfEPffEEEvT_T0_DpT1_.private_seg_size, 0
	.set _ZN2at6native12_GLOBAL__N_125multi_tensor_apply_kernelINS1_18TensorListMetadataILi1EEENS1_27BinaryOpScalarTensorFunctorIfLi1ELi1ELi0EEEJSt10multipliesIfEPffEEEvT_T0_DpT1_.uses_vcc, 1
	.set _ZN2at6native12_GLOBAL__N_125multi_tensor_apply_kernelINS1_18TensorListMetadataILi1EEENS1_27BinaryOpScalarTensorFunctorIfLi1ELi1ELi0EEEJSt10multipliesIfEPffEEEvT_T0_DpT1_.uses_flat_scratch, 0
	.set _ZN2at6native12_GLOBAL__N_125multi_tensor_apply_kernelINS1_18TensorListMetadataILi1EEENS1_27BinaryOpScalarTensorFunctorIfLi1ELi1ELi0EEEJSt10multipliesIfEPffEEEvT_T0_DpT1_.has_dyn_sized_stack, 0
	.set _ZN2at6native12_GLOBAL__N_125multi_tensor_apply_kernelINS1_18TensorListMetadataILi1EEENS1_27BinaryOpScalarTensorFunctorIfLi1ELi1ELi0EEEJSt10multipliesIfEPffEEEvT_T0_DpT1_.has_recursion, 0
	.set _ZN2at6native12_GLOBAL__N_125multi_tensor_apply_kernelINS1_18TensorListMetadataILi1EEENS1_27BinaryOpScalarTensorFunctorIfLi1ELi1ELi0EEEJSt10multipliesIfEPffEEEvT_T0_DpT1_.has_indirect_call, 0
	.section	.AMDGPU.csdata,"",@progbits
; Kernel info:
; codeLenInByte = 1272
; TotalNumSgprs: 30
; NumVgprs: 17
; ScratchSize: 0
; MemoryBound: 0
; FloatMode: 240
; IeeeMode: 1
; LDSByteSize: 0 bytes/workgroup (compile time only)
; SGPRBlocks: 0
; VGPRBlocks: 2
; NumSGPRsForWavesPerEU: 30
; NumVGPRsForWavesPerEU: 17
; Occupancy: 16
; WaveLimiterHint : 0
; COMPUTE_PGM_RSRC2:SCRATCH_EN: 0
; COMPUTE_PGM_RSRC2:USER_SGPR: 2
; COMPUTE_PGM_RSRC2:TRAP_HANDLER: 0
; COMPUTE_PGM_RSRC2:TGID_X_EN: 1
; COMPUTE_PGM_RSRC2:TGID_Y_EN: 0
; COMPUTE_PGM_RSRC2:TGID_Z_EN: 0
; COMPUTE_PGM_RSRC2:TIDIG_COMP_CNT: 0
	.section	.text._ZN2at6native12_GLOBAL__N_125multi_tensor_apply_kernelINS1_18TensorListMetadataILi1EEENS1_27BinaryOpScalarTensorFunctorIN3c107complexIdEELi1ELi1ELi0EEEJSt10multipliesIS8_EPS8_S8_EEEvT_T0_DpT1_,"axG",@progbits,_ZN2at6native12_GLOBAL__N_125multi_tensor_apply_kernelINS1_18TensorListMetadataILi1EEENS1_27BinaryOpScalarTensorFunctorIN3c107complexIdEELi1ELi1ELi0EEEJSt10multipliesIS8_EPS8_S8_EEEvT_T0_DpT1_,comdat
	.globl	_ZN2at6native12_GLOBAL__N_125multi_tensor_apply_kernelINS1_18TensorListMetadataILi1EEENS1_27BinaryOpScalarTensorFunctorIN3c107complexIdEELi1ELi1ELi0EEEJSt10multipliesIS8_EPS8_S8_EEEvT_T0_DpT1_ ; -- Begin function _ZN2at6native12_GLOBAL__N_125multi_tensor_apply_kernelINS1_18TensorListMetadataILi1EEENS1_27BinaryOpScalarTensorFunctorIN3c107complexIdEELi1ELi1ELi0EEEJSt10multipliesIS8_EPS8_S8_EEEvT_T0_DpT1_
	.p2align	8
	.type	_ZN2at6native12_GLOBAL__N_125multi_tensor_apply_kernelINS1_18TensorListMetadataILi1EEENS1_27BinaryOpScalarTensorFunctorIN3c107complexIdEELi1ELi1ELi0EEEJSt10multipliesIS8_EPS8_S8_EEEvT_T0_DpT1_,@function
_ZN2at6native12_GLOBAL__N_125multi_tensor_apply_kernelINS1_18TensorListMetadataILi1EEENS1_27BinaryOpScalarTensorFunctorIN3c107complexIdEELi1ELi1ELi0EEEJSt10multipliesIS8_EPS8_S8_EEEvT_T0_DpT1_: ; @_ZN2at6native12_GLOBAL__N_125multi_tensor_apply_kernelINS1_18TensorListMetadataILi1EEENS1_27BinaryOpScalarTensorFunctorIN3c107complexIdEELi1ELi1ELi0EEEJSt10multipliesIS8_EPS8_S8_EEEvT_T0_DpT1_
; %bb.0:
	s_load_u8 s8, s[0:1], ttmp9 offset:0x6e0
	s_mov_b32 s2, ttmp9
	s_mov_b32 s3, 0
	s_delay_alu instid0(SALU_CYCLE_1)
	s_mul_u64 s[4:5], s[2:3], 3
	s_add_nc_u64 s[6:7], s[0:1], s[2:3]
	s_mov_b32 s21, s3
	s_add_nc_u64 s[4:5], s[6:7], s[4:5]
	s_load_b32 s4, s[4:5], 0x820
	s_wait_kmcnt 0x0
	s_lshl_b32 s2, s8, 3
	s_clause 0x3
	s_load_b64 s[12:13], s[0:1], s2 offset:0x0
	s_load_b64 s[16:17], s[0:1], s2 offset:0x370
	s_load_b64 s[6:7], s[0:1], 0xd30
	s_load_b128 s[8:11], s[0:1], 0xd40
	s_ashr_i32 s5, s4, 31
	s_delay_alu instid0(SALU_CYCLE_1)
	s_lshl_b64 s[14:15], s[4:5], 20
	s_lshl_b64 s[4:5], s[4:5], 16
	s_wait_kmcnt 0x0
	s_add_nc_u64 s[18:19], s[12:13], s[14:15]
	s_and_b32 s20, s16, 3
	s_and_b32 s2, s18, 63
	s_sub_nc_u64 s[16:17], s[16:17], s[4:5]
	s_or_b64 s[2:3], s[2:3], s[20:21]
	s_delay_alu instid0(SALU_CYCLE_1)
	s_cmp_eq_u64 s[2:3], 0
	s_cbranch_scc1 .LBB31_21
; %bb.1:
	v_cmp_lt_i64_e64 s2, s[16:17], 1
	s_and_b32 vcc_lo, exec_lo, s2
	s_cbranch_vccnz .LBB31_20
; %bb.2:
	s_load_b32 s2, s[0:1], 0xd5c
	v_cmp_gt_i64_e64 s3, 0x10000, s[16:17]
	v_cmp_gt_u64_e64 s4, 0x10000, s[16:17]
	v_dual_mov_b32 v18, 0 :: v_dual_lshlrev_b32 v17, 4, v0
	s_mov_b32 s21, 0
	s_mov_b64 s[28:29], 0
	s_and_b32 s3, s3, exec_lo
	s_cselect_b32 s23, s17, 0
	s_cselect_b32 s22, s16, 0x10000
	s_mov_b32 s27, s21
	s_wait_kmcnt 0x0
	s_and_b32 s2, s2, 0xffff
	s_and_b32 s3, s4, exec_lo
	s_mul_i32 s4, s2, 3
	v_add_co_u32 v25, s5, v0, s2
	v_mad_co_u64_u32 v[19:20], null, s2, 48, v[17:18]
	s_cselect_b32 s25, s17, 0
	s_cselect_b32 s24, s16, 0x10000
	v_add_co_ci_u32_e64 v26, null, 0, 0, s5
	s_lshl_b32 s5, s2, 5
	v_add_co_u32 v27, s4, s4, v0
	s_wait_alu 0xf1ff
	v_add_co_ci_u32_e64 v28, null, 0, 0, s4
	s_wait_alu 0xfffe
	v_add_co_u32 v1, s4, s5, v17
	s_lshl_b32 s3, s2, 1
	v_lshlrev_b32_e32 v29, 4, v25
	s_wait_alu 0xfffe
	v_add_co_u32 v32, s3, s3, v0
	v_or_b32_e32 v19, 8, v19
	v_add_co_ci_u32_e64 v30, null, 0, 0, s4
	v_or_b32_e32 v31, 8, v1
	s_wait_alu 0xf1ff
	v_add_co_ci_u32_e64 v33, null, 0, 0, s3
	s_lshl_b32 s20, s2, 2
	s_lshl_b32 s26, s2, 6
	s_branch .LBB31_4
.LBB31_3:                               ;   in Loop: Header=BB31_4 Depth=1
	s_wait_alu 0xfffe
	s_or_b32 exec_lo, exec_lo, s2
	s_add_nc_u64 s[28:29], s[28:29], s[20:21]
	s_add_nc_u64 s[18:19], s[18:19], s[26:27]
	s_wait_alu 0xfffe
	v_cmp_lt_i64_e64 s2, s[28:29], s[22:23]
	s_and_b32 vcc_lo, exec_lo, s2
	s_wait_alu 0xfffe
	s_cbranch_vccz .LBB31_20
.LBB31_4:                               ; =>This Inner Loop Header: Depth=1
	v_add_co_u32 v1, s2, v0, s28
	s_wait_alu 0xf1ff
	v_add_co_ci_u32_e64 v2, null, 0, s29, s2
	v_mov_b32_e32 v3, 0
	v_dual_mov_b32 v4, 0 :: v_dual_mov_b32 v11, 0
	s_delay_alu instid0(VALU_DEP_3)
	v_cmp_gt_u64_e32 vcc_lo, s[24:25], v[1:2]
	v_dual_mov_b32 v9, 0 :: v_dual_mov_b32 v12, 0
	v_mov_b32_e32 v10, 0
	s_and_saveexec_b32 s2, vcc_lo
	s_cbranch_execz .LBB31_6
; %bb.5:                                ;   in Loop: Header=BB31_4 Depth=1
	v_add_co_u32 v1, s3, s18, v17
	s_wait_alu 0xf1ff
	v_add_co_ci_u32_e64 v2, null, s19, 0, s3
	global_load_b128 v[9:12], v[1:2], off
.LBB31_6:                               ;   in Loop: Header=BB31_4 Depth=1
	s_wait_alu 0xfffe
	s_or_b32 exec_lo, exec_lo, s2
	v_add_co_u32 v1, s2, v25, s28
	s_wait_alu 0xf1ff
	v_add_co_ci_u32_e64 v2, null, s29, v26, s2
	s_delay_alu instid0(VALU_DEP_1)
	v_cmp_gt_u64_e64 s2, s[24:25], v[1:2]
	v_mov_b32_e32 v1, 0
	v_mov_b32_e32 v2, 0
	s_and_saveexec_b32 s3, s2
	s_cbranch_execz .LBB31_8
; %bb.7:                                ;   in Loop: Header=BB31_4 Depth=1
	v_add_co_u32 v1, s4, s18, v29
	s_wait_alu 0xf1ff
	v_add_co_ci_u32_e64 v2, null, s19, 0, s4
	global_load_b128 v[1:4], v[1:2], off
.LBB31_8:                               ;   in Loop: Header=BB31_4 Depth=1
	s_wait_alu 0xfffe
	s_or_b32 exec_lo, exec_lo, s3
	v_add_co_u32 v5, s3, v32, s28
	s_wait_alu 0xf1ff
	v_add_co_ci_u32_e64 v6, null, s29, v33, s3
	v_mov_b32_e32 v7, 0
	v_dual_mov_b32 v8, 0 :: v_dual_mov_b32 v15, 0
	s_delay_alu instid0(VALU_DEP_3)
	v_cmp_gt_u64_e64 s3, s[24:25], v[5:6]
	v_dual_mov_b32 v13, 0 :: v_dual_mov_b32 v16, 0
	v_mov_b32_e32 v14, 0
	s_and_saveexec_b32 s5, s3
	s_cbranch_execz .LBB31_10
; %bb.9:                                ;   in Loop: Header=BB31_4 Depth=1
	v_add_co_u32 v5, s4, s18, v31
	s_wait_alu 0xf1ff
	v_add_co_ci_u32_e64 v6, null, s19, v30, s4
	global_load_b128 v[13:16], v[5:6], off offset:-8
.LBB31_10:                              ;   in Loop: Header=BB31_4 Depth=1
	s_wait_alu 0xfffe
	s_or_b32 exec_lo, exec_lo, s5
	v_add_co_u32 v5, s4, v27, s28
	s_wait_alu 0xf1ff
	v_add_co_ci_u32_e64 v6, null, s29, v28, s4
	s_delay_alu instid0(VALU_DEP_1)
	v_cmp_gt_u64_e64 s4, s[24:25], v[5:6]
	v_mov_b32_e32 v5, 0
	v_mov_b32_e32 v6, 0
	s_and_saveexec_b32 s30, s4
	s_cbranch_execz .LBB31_12
; %bb.11:                               ;   in Loop: Header=BB31_4 Depth=1
	v_add_co_u32 v5, s5, s18, v19
	s_wait_alu 0xf1ff
	v_add_co_ci_u32_e64 v6, null, s19, v20, s5
	global_load_b128 v[5:8], v[5:6], off offset:-8
.LBB31_12:                              ;   in Loop: Header=BB31_4 Depth=1
	s_wait_alu 0xfffe
	s_or_b32 exec_lo, exec_lo, s30
	global_load_b128 v[34:37], v18, s[6:7]
	s_wait_loadcnt 0x0
	v_mul_f64_e32 v[21:22], s[10:11], v[36:37]
	v_mul_f64_e32 v[23:24], s[8:9], v[36:37]
	s_delay_alu instid0(VALU_DEP_2) | instskip(NEXT) | instid1(VALU_DEP_2)
	v_fma_f64 v[21:22], s[8:9], v[34:35], -v[21:22]
	v_fma_f64 v[23:24], s[10:11], v[34:35], v[23:24]
	s_and_saveexec_b32 s5, vcc_lo
	s_cbranch_execnz .LBB31_16
; %bb.13:                               ;   in Loop: Header=BB31_4 Depth=1
	s_wait_alu 0xfffe
	s_or_b32 exec_lo, exec_lo, s5
	s_and_saveexec_b32 s5, s2
	s_cbranch_execnz .LBB31_17
.LBB31_14:                              ;   in Loop: Header=BB31_4 Depth=1
	s_wait_alu 0xfffe
	s_or_b32 exec_lo, exec_lo, s5
	s_and_saveexec_b32 s2, s3
	s_cbranch_execnz .LBB31_18
.LBB31_15:                              ;   in Loop: Header=BB31_4 Depth=1
	s_wait_alu 0xfffe
	s_or_b32 exec_lo, exec_lo, s2
	s_and_saveexec_b32 s2, s4
	s_cbranch_execz .LBB31_3
	s_branch .LBB31_19
.LBB31_16:                              ;   in Loop: Header=BB31_4 Depth=1
	s_delay_alu instid0(VALU_DEP_1) | instskip(SKIP_1) | instid1(VALU_DEP_2)
	v_mul_f64_e32 v[34:35], v[9:10], v[23:24]
	v_mul_f64_e32 v[36:37], v[11:12], v[23:24]
	v_fma_f64 v[11:12], v[11:12], v[21:22], v[34:35]
	s_delay_alu instid0(VALU_DEP_2)
	v_fma_f64 v[9:10], v[9:10], v[21:22], -v[36:37]
	v_add_co_u32 v34, s30, s18, v17
	s_wait_alu 0xf1ff
	v_add_co_ci_u32_e64 v35, null, s19, 0, s30
	global_store_b128 v[34:35], v[9:12], off
	s_wait_alu 0xfffe
	s_or_b32 exec_lo, exec_lo, s5
	s_and_saveexec_b32 s5, s2
	s_cbranch_execz .LBB31_14
.LBB31_17:                              ;   in Loop: Header=BB31_4 Depth=1
	s_delay_alu instid0(VALU_DEP_1) | instskip(SKIP_1) | instid1(VALU_DEP_2)
	v_mul_f64_e32 v[9:10], v[3:4], v[23:24]
	v_mul_f64_e32 v[11:12], v[1:2], v[23:24]
	v_fma_f64 v[1:2], v[1:2], v[21:22], -v[9:10]
	s_delay_alu instid0(VALU_DEP_2)
	v_fma_f64 v[3:4], v[3:4], v[21:22], v[11:12]
	v_add_co_u32 v9, s2, s18, v29
	s_wait_alu 0xf1ff
	v_add_co_ci_u32_e64 v10, null, s19, 0, s2
	global_store_b128 v[9:10], v[1:4], off
	s_wait_alu 0xfffe
	s_or_b32 exec_lo, exec_lo, s5
	s_and_saveexec_b32 s2, s3
	s_cbranch_execz .LBB31_15
.LBB31_18:                              ;   in Loop: Header=BB31_4 Depth=1
	s_delay_alu instid0(VALU_DEP_1) | instskip(SKIP_4) | instid1(VALU_DEP_4)
	v_mul_f64_e32 v[1:2], v[15:16], v[23:24]
	v_mul_f64_e32 v[3:4], v[13:14], v[23:24]
	v_add_co_u32 v9, vcc_lo, s18, v31
	s_wait_alu 0xfffd
	v_add_co_ci_u32_e64 v10, null, s19, v30, vcc_lo
	v_fma_f64 v[1:2], v[13:14], v[21:22], -v[1:2]
	s_delay_alu instid0(VALU_DEP_4)
	v_fma_f64 v[3:4], v[15:16], v[21:22], v[3:4]
	global_store_b128 v[9:10], v[1:4], off offset:-8
	s_wait_alu 0xfffe
	s_or_b32 exec_lo, exec_lo, s2
	s_and_saveexec_b32 s2, s4
	s_cbranch_execz .LBB31_3
.LBB31_19:                              ;   in Loop: Header=BB31_4 Depth=1
	s_delay_alu instid0(VALU_DEP_1) | instskip(SKIP_1) | instid1(VALU_DEP_2)
	v_mul_f64_e32 v[1:2], v[7:8], v[23:24]
	v_mul_f64_e32 v[3:4], v[5:6], v[23:24]
	v_fma_f64 v[1:2], v[5:6], v[21:22], -v[1:2]
	s_delay_alu instid0(VALU_DEP_2)
	v_fma_f64 v[3:4], v[7:8], v[21:22], v[3:4]
	v_add_co_u32 v5, vcc_lo, s18, v19
	s_wait_alu 0xfffd
	v_add_co_ci_u32_e64 v6, null, s19, v20, vcc_lo
	global_store_b128 v[5:6], v[1:4], off offset:-8
	s_branch .LBB31_3
.LBB31_20:
	s_cbranch_execz .LBB31_22
	s_branch .LBB31_25
.LBB31_21:
.LBB31_22:
	v_cmp_gt_i64_e64 s2, 0x10000, s[16:17]
	v_dual_mov_b32 v2, 0 :: v_dual_lshlrev_b32 v1, 2, v0
	s_mov_b32 s4, 0
	s_mov_b32 s5, exec_lo
	s_and_b32 s2, s2, exec_lo
	s_cselect_b32 s3, s17, 0
	s_cselect_b32 s2, s16, 0x10000
	s_wait_alu 0xfffe
	v_cmpx_gt_i64_e64 s[2:3], v[1:2]
	s_cbranch_execz .LBB31_25
; %bb.23:
	s_load_b32 s5, s[0:1], 0xd5c
	v_lshlrev_b32_e32 v3, 6, v0
	s_add_nc_u64 s[0:1], s[12:13], s[14:15]
	v_mov_b32_e32 v1, v2
	s_delay_alu instid0(VALU_DEP_2)
	v_add_co_u32 v3, s0, s0, v3
	s_wait_alu 0xf1ff
	v_add_co_ci_u32_e64 v4, null, s1, 0, s0
	s_wait_kmcnt 0x0
	s_and_b32 s1, s5, 0xffff
	s_wait_alu 0xfffe
	s_lshl_b32 s5, s1, 6
.LBB31_24:                              ; =>This Inner Loop Header: Depth=1
	global_load_b128 v[5:8], v2, s[6:7]
	s_clause 0x3
	global_load_b128 v[9:12], v[3:4], off
	global_load_b128 v[13:16], v[3:4], off offset:16
	global_load_b128 v[17:20], v[3:4], off offset:32
	;; [unrolled: 1-line block ×3, first 2 shown]
	v_add_co_u32 v0, vcc_lo, v0, s1
	s_wait_alu 0xfffd
	v_add_co_ci_u32_e64 v1, null, 0, v1, vcc_lo
	s_wait_loadcnt 0x4
	v_mul_f64_e32 v[25:26], s[8:9], v[7:8]
	v_mul_f64_e32 v[7:8], s[10:11], v[7:8]
	s_delay_alu instid0(VALU_DEP_2) | instskip(NEXT) | instid1(VALU_DEP_2)
	v_fma_f64 v[25:26], s[10:11], v[5:6], v[25:26]
	v_fma_f64 v[27:28], s[8:9], v[5:6], -v[7:8]
	s_wait_loadcnt 0x3
	s_delay_alu instid0(VALU_DEP_2)
	v_mul_f64_e32 v[5:6], v[11:12], v[25:26]
	v_mul_f64_e32 v[7:8], v[9:10], v[25:26]
	s_wait_loadcnt 0x2
	v_mul_f64_e32 v[29:30], v[15:16], v[25:26]
	v_mul_f64_e32 v[31:32], v[13:14], v[25:26]
	s_wait_loadcnt 0x1
	;; [unrolled: 3-line block ×3, first 2 shown]
	v_mul_f64_e32 v[37:38], v[23:24], v[25:26]
	v_mul_f64_e32 v[25:26], v[21:22], v[25:26]
	v_fma_f64 v[5:6], v[9:10], v[27:28], -v[5:6]
	v_fma_f64 v[7:8], v[11:12], v[27:28], v[7:8]
	v_fma_f64 v[9:10], v[13:14], v[27:28], -v[29:30]
	v_fma_f64 v[11:12], v[15:16], v[27:28], v[31:32]
	;; [unrolled: 2-line block ×4, first 2 shown]
	v_lshlrev_b64_e32 v[21:22], 2, v[0:1]
	s_clause 0x3
	global_store_b128 v[3:4], v[5:8], off
	global_store_b128 v[3:4], v[9:12], off offset:16
	global_store_b128 v[3:4], v[13:16], off offset:32
	;; [unrolled: 1-line block ×3, first 2 shown]
	v_cmp_le_i64_e32 vcc_lo, s[2:3], v[21:22]
	s_wait_alu 0xfffe
	v_add_co_u32 v3, s0, v3, s5
	s_wait_alu 0xf1ff
	v_add_co_ci_u32_e64 v4, null, 0, v4, s0
	s_or_b32 s4, vcc_lo, s4
	s_wait_alu 0xfffe
	s_and_not1_b32 exec_lo, exec_lo, s4
	s_cbranch_execnz .LBB31_24
.LBB31_25:
	s_endpgm
	.section	.rodata,"a",@progbits
	.p2align	6, 0x0
	.amdhsa_kernel _ZN2at6native12_GLOBAL__N_125multi_tensor_apply_kernelINS1_18TensorListMetadataILi1EEENS1_27BinaryOpScalarTensorFunctorIN3c107complexIdEELi1ELi1ELi0EEEJSt10multipliesIS8_EPS8_S8_EEEvT_T0_DpT1_
		.amdhsa_group_segment_fixed_size 0
		.amdhsa_private_segment_fixed_size 0
		.amdhsa_kernarg_size 3664
		.amdhsa_user_sgpr_count 2
		.amdhsa_user_sgpr_dispatch_ptr 0
		.amdhsa_user_sgpr_queue_ptr 0
		.amdhsa_user_sgpr_kernarg_segment_ptr 1
		.amdhsa_user_sgpr_dispatch_id 0
		.amdhsa_user_sgpr_private_segment_size 0
		.amdhsa_wavefront_size32 1
		.amdhsa_uses_dynamic_stack 0
		.amdhsa_enable_private_segment 0
		.amdhsa_system_sgpr_workgroup_id_x 1
		.amdhsa_system_sgpr_workgroup_id_y 0
		.amdhsa_system_sgpr_workgroup_id_z 0
		.amdhsa_system_sgpr_workgroup_info 0
		.amdhsa_system_vgpr_workitem_id 0
		.amdhsa_next_free_vgpr 39
		.amdhsa_next_free_sgpr 31
		.amdhsa_reserve_vcc 1
		.amdhsa_float_round_mode_32 0
		.amdhsa_float_round_mode_16_64 0
		.amdhsa_float_denorm_mode_32 3
		.amdhsa_float_denorm_mode_16_64 3
		.amdhsa_fp16_overflow 0
		.amdhsa_workgroup_processor_mode 1
		.amdhsa_memory_ordered 1
		.amdhsa_forward_progress 1
		.amdhsa_inst_pref_size 14
		.amdhsa_round_robin_scheduling 0
		.amdhsa_exception_fp_ieee_invalid_op 0
		.amdhsa_exception_fp_denorm_src 0
		.amdhsa_exception_fp_ieee_div_zero 0
		.amdhsa_exception_fp_ieee_overflow 0
		.amdhsa_exception_fp_ieee_underflow 0
		.amdhsa_exception_fp_ieee_inexact 0
		.amdhsa_exception_int_div_zero 0
	.end_amdhsa_kernel
	.section	.text._ZN2at6native12_GLOBAL__N_125multi_tensor_apply_kernelINS1_18TensorListMetadataILi1EEENS1_27BinaryOpScalarTensorFunctorIN3c107complexIdEELi1ELi1ELi0EEEJSt10multipliesIS8_EPS8_S8_EEEvT_T0_DpT1_,"axG",@progbits,_ZN2at6native12_GLOBAL__N_125multi_tensor_apply_kernelINS1_18TensorListMetadataILi1EEENS1_27BinaryOpScalarTensorFunctorIN3c107complexIdEELi1ELi1ELi0EEEJSt10multipliesIS8_EPS8_S8_EEEvT_T0_DpT1_,comdat
.Lfunc_end31:
	.size	_ZN2at6native12_GLOBAL__N_125multi_tensor_apply_kernelINS1_18TensorListMetadataILi1EEENS1_27BinaryOpScalarTensorFunctorIN3c107complexIdEELi1ELi1ELi0EEEJSt10multipliesIS8_EPS8_S8_EEEvT_T0_DpT1_, .Lfunc_end31-_ZN2at6native12_GLOBAL__N_125multi_tensor_apply_kernelINS1_18TensorListMetadataILi1EEENS1_27BinaryOpScalarTensorFunctorIN3c107complexIdEELi1ELi1ELi0EEEJSt10multipliesIS8_EPS8_S8_EEEvT_T0_DpT1_
                                        ; -- End function
	.set _ZN2at6native12_GLOBAL__N_125multi_tensor_apply_kernelINS1_18TensorListMetadataILi1EEENS1_27BinaryOpScalarTensorFunctorIN3c107complexIdEELi1ELi1ELi0EEEJSt10multipliesIS8_EPS8_S8_EEEvT_T0_DpT1_.num_vgpr, 39
	.set _ZN2at6native12_GLOBAL__N_125multi_tensor_apply_kernelINS1_18TensorListMetadataILi1EEENS1_27BinaryOpScalarTensorFunctorIN3c107complexIdEELi1ELi1ELi0EEEJSt10multipliesIS8_EPS8_S8_EEEvT_T0_DpT1_.num_agpr, 0
	.set _ZN2at6native12_GLOBAL__N_125multi_tensor_apply_kernelINS1_18TensorListMetadataILi1EEENS1_27BinaryOpScalarTensorFunctorIN3c107complexIdEELi1ELi1ELi0EEEJSt10multipliesIS8_EPS8_S8_EEEvT_T0_DpT1_.numbered_sgpr, 31
	.set _ZN2at6native12_GLOBAL__N_125multi_tensor_apply_kernelINS1_18TensorListMetadataILi1EEENS1_27BinaryOpScalarTensorFunctorIN3c107complexIdEELi1ELi1ELi0EEEJSt10multipliesIS8_EPS8_S8_EEEvT_T0_DpT1_.num_named_barrier, 0
	.set _ZN2at6native12_GLOBAL__N_125multi_tensor_apply_kernelINS1_18TensorListMetadataILi1EEENS1_27BinaryOpScalarTensorFunctorIN3c107complexIdEELi1ELi1ELi0EEEJSt10multipliesIS8_EPS8_S8_EEEvT_T0_DpT1_.private_seg_size, 0
	.set _ZN2at6native12_GLOBAL__N_125multi_tensor_apply_kernelINS1_18TensorListMetadataILi1EEENS1_27BinaryOpScalarTensorFunctorIN3c107complexIdEELi1ELi1ELi0EEEJSt10multipliesIS8_EPS8_S8_EEEvT_T0_DpT1_.uses_vcc, 1
	.set _ZN2at6native12_GLOBAL__N_125multi_tensor_apply_kernelINS1_18TensorListMetadataILi1EEENS1_27BinaryOpScalarTensorFunctorIN3c107complexIdEELi1ELi1ELi0EEEJSt10multipliesIS8_EPS8_S8_EEEvT_T0_DpT1_.uses_flat_scratch, 0
	.set _ZN2at6native12_GLOBAL__N_125multi_tensor_apply_kernelINS1_18TensorListMetadataILi1EEENS1_27BinaryOpScalarTensorFunctorIN3c107complexIdEELi1ELi1ELi0EEEJSt10multipliesIS8_EPS8_S8_EEEvT_T0_DpT1_.has_dyn_sized_stack, 0
	.set _ZN2at6native12_GLOBAL__N_125multi_tensor_apply_kernelINS1_18TensorListMetadataILi1EEENS1_27BinaryOpScalarTensorFunctorIN3c107complexIdEELi1ELi1ELi0EEEJSt10multipliesIS8_EPS8_S8_EEEvT_T0_DpT1_.has_recursion, 0
	.set _ZN2at6native12_GLOBAL__N_125multi_tensor_apply_kernelINS1_18TensorListMetadataILi1EEENS1_27BinaryOpScalarTensorFunctorIN3c107complexIdEELi1ELi1ELi0EEEJSt10multipliesIS8_EPS8_S8_EEEvT_T0_DpT1_.has_indirect_call, 0
	.section	.AMDGPU.csdata,"",@progbits
; Kernel info:
; codeLenInByte = 1676
; TotalNumSgprs: 33
; NumVgprs: 39
; ScratchSize: 0
; MemoryBound: 1
; FloatMode: 240
; IeeeMode: 1
; LDSByteSize: 0 bytes/workgroup (compile time only)
; SGPRBlocks: 0
; VGPRBlocks: 4
; NumSGPRsForWavesPerEU: 33
; NumVGPRsForWavesPerEU: 39
; Occupancy: 16
; WaveLimiterHint : 0
; COMPUTE_PGM_RSRC2:SCRATCH_EN: 0
; COMPUTE_PGM_RSRC2:USER_SGPR: 2
; COMPUTE_PGM_RSRC2:TRAP_HANDLER: 0
; COMPUTE_PGM_RSRC2:TGID_X_EN: 1
; COMPUTE_PGM_RSRC2:TGID_Y_EN: 0
; COMPUTE_PGM_RSRC2:TGID_Z_EN: 0
; COMPUTE_PGM_RSRC2:TIDIG_COMP_CNT: 0
	.section	.text._ZN2at6native12_GLOBAL__N_125multi_tensor_apply_kernelINS1_18TensorListMetadataILi1EEENS1_27BinaryOpScalarTensorFunctorIN3c107complexIfEELi1ELi1ELi0EEEJSt10multipliesIS8_EPS8_S8_EEEvT_T0_DpT1_,"axG",@progbits,_ZN2at6native12_GLOBAL__N_125multi_tensor_apply_kernelINS1_18TensorListMetadataILi1EEENS1_27BinaryOpScalarTensorFunctorIN3c107complexIfEELi1ELi1ELi0EEEJSt10multipliesIS8_EPS8_S8_EEEvT_T0_DpT1_,comdat
	.globl	_ZN2at6native12_GLOBAL__N_125multi_tensor_apply_kernelINS1_18TensorListMetadataILi1EEENS1_27BinaryOpScalarTensorFunctorIN3c107complexIfEELi1ELi1ELi0EEEJSt10multipliesIS8_EPS8_S8_EEEvT_T0_DpT1_ ; -- Begin function _ZN2at6native12_GLOBAL__N_125multi_tensor_apply_kernelINS1_18TensorListMetadataILi1EEENS1_27BinaryOpScalarTensorFunctorIN3c107complexIfEELi1ELi1ELi0EEEJSt10multipliesIS8_EPS8_S8_EEEvT_T0_DpT1_
	.p2align	8
	.type	_ZN2at6native12_GLOBAL__N_125multi_tensor_apply_kernelINS1_18TensorListMetadataILi1EEENS1_27BinaryOpScalarTensorFunctorIN3c107complexIfEELi1ELi1ELi0EEEJSt10multipliesIS8_EPS8_S8_EEEvT_T0_DpT1_,@function
_ZN2at6native12_GLOBAL__N_125multi_tensor_apply_kernelINS1_18TensorListMetadataILi1EEENS1_27BinaryOpScalarTensorFunctorIN3c107complexIfEELi1ELi1ELi0EEEJSt10multipliesIS8_EPS8_S8_EEEvT_T0_DpT1_: ; @_ZN2at6native12_GLOBAL__N_125multi_tensor_apply_kernelINS1_18TensorListMetadataILi1EEENS1_27BinaryOpScalarTensorFunctorIN3c107complexIfEELi1ELi1ELi0EEEJSt10multipliesIS8_EPS8_S8_EEEvT_T0_DpT1_
; %bb.0:
	s_mov_b32 s2, ttmp9
	s_mov_b32 s3, 0
	s_delay_alu instid0(SALU_CYCLE_1)
	s_mul_u64 s[4:5], s[2:3], 3
	s_add_nc_u64 s[6:7], s[0:1], s[2:3]
	s_mov_b32 s19, s3
	s_add_nc_u64 s[4:5], s[6:7], s[4:5]
	s_clause 0x1
	s_load_b32 s4, s[4:5], 0x820
	s_load_u8 s2, s[0:1], ttmp9 offset:0x6e0
	s_wait_kmcnt 0x0
	s_ashr_i32 s5, s4, 31
	s_lshl_b32 s2, s2, 3
	s_clause 0x2
	s_load_b64 s[6:7], s[0:1], s2 offset:0x0
	s_load_b64 s[14:15], s[0:1], s2 offset:0x370
	s_load_b128 s[8:11], s[0:1], 0xd30
	s_lshl_b64 s[12:13], s[4:5], 19
	s_lshl_b64 s[4:5], s[4:5], 16
	s_wait_kmcnt 0x0
	s_add_nc_u64 s[16:17], s[6:7], s[12:13]
	s_and_b32 s18, s14, 3
	s_and_b32 s2, s16, 31
	s_sub_nc_u64 s[14:15], s[14:15], s[4:5]
	s_or_b64 s[2:3], s[2:3], s[18:19]
	s_delay_alu instid0(SALU_CYCLE_1)
	s_cmp_eq_u64 s[2:3], 0
	s_cbranch_scc1 .LBB32_21
; %bb.1:
	v_cmp_lt_i64_e64 s2, s[14:15], 1
	s_and_b32 vcc_lo, exec_lo, s2
	s_cbranch_vccnz .LBB32_20
; %bb.2:
	s_load_b32 s2, s[0:1], 0xd4c
	v_cmp_gt_i64_e64 s3, 0x10000, s[14:15]
	v_cmp_gt_u64_e64 s4, 0x10000, s[14:15]
	v_dual_mov_b32 v2, 0 :: v_dual_lshlrev_b32 v1, 3, v0
	s_mov_b32 s19, 0
	s_mov_b64 s[26:27], 0
	s_and_b32 s3, s3, exec_lo
	s_cselect_b32 s21, s15, 0
	s_cselect_b32 s20, s14, 0x10000
	s_mov_b32 s25, s19
	s_wait_kmcnt 0x0
	s_and_b32 s2, s2, 0xffff
	s_and_b32 s3, s4, exec_lo
	s_mul_i32 s4, s2, 3
	s_cselect_b32 s23, s15, 0
	s_cselect_b32 s22, s14, 0x10000
	s_lshl_b32 s5, s2, 4
	v_add_co_u32 v13, s4, s4, v0
	s_wait_alu 0xf1ff
	v_add_co_ci_u32_e64 v14, null, 0, 0, s4
	v_add_co_u32 v5, s4, s5, v1
	v_add_co_u32 v15, s5, v0, s2
	s_lshl_b32 s3, s2, 1
	v_mad_co_u64_u32 v[3:4], null, s2, 24, v[1:2]
	s_wait_alu 0xfffe
	v_add_co_u32 v19, s3, s3, v0
	v_add_co_ci_u32_e64 v16, null, 0, 0, s5
	v_add_co_ci_u32_e64 v17, null, 0, 0, s4
	v_or_b32_e32 v18, 4, v5
	s_wait_alu 0xf1ff
	v_add_co_ci_u32_e64 v20, null, 0, 0, s3
	v_lshl_or_b32 v21, v15, 3, 4
	s_lshl_b32 s18, s2, 2
	s_lshl_b32 s24, s2, 5
	s_branch .LBB32_4
.LBB32_3:                               ;   in Loop: Header=BB32_4 Depth=1
	s_wait_alu 0xfffe
	s_or_b32 exec_lo, exec_lo, s2
	s_add_nc_u64 s[26:27], s[26:27], s[18:19]
	s_add_nc_u64 s[16:17], s[16:17], s[24:25]
	s_wait_alu 0xfffe
	v_cmp_lt_i64_e64 s2, s[26:27], s[20:21]
	s_and_b32 vcc_lo, exec_lo, s2
	s_wait_alu 0xfffe
	s_cbranch_vccz .LBB32_20
.LBB32_4:                               ; =>This Inner Loop Header: Depth=1
	v_add_co_u32 v5, s2, v0, s26
	s_wait_alu 0xf1ff
	v_add_co_ci_u32_e64 v6, null, 0, s27, s2
	v_dual_mov_b32 v8, 0 :: v_dual_mov_b32 v7, 0
	s_delay_alu instid0(VALU_DEP_2)
	v_cmp_gt_u64_e32 vcc_lo, s[22:23], v[5:6]
	s_and_saveexec_b32 s2, vcc_lo
	s_cbranch_execz .LBB32_6
; %bb.5:                                ;   in Loop: Header=BB32_4 Depth=1
	v_add_co_u32 v5, s3, s16, v1
	s_wait_alu 0xf1ff
	v_add_co_ci_u32_e64 v6, null, s17, 0, s3
	global_load_b64 v[7:8], v[5:6], off
.LBB32_6:                               ;   in Loop: Header=BB32_4 Depth=1
	s_wait_alu 0xfffe
	s_or_b32 exec_lo, exec_lo, s2
	v_add_co_u32 v9, s2, v15, s26
	s_wait_alu 0xf1ff
	v_add_co_ci_u32_e64 v10, null, s27, v16, s2
	v_mov_b32_e32 v6, 0
	s_delay_alu instid0(VALU_DEP_2)
	v_cmp_gt_u64_e64 s2, s[22:23], v[9:10]
	v_dual_mov_b32 v10, 0 :: v_dual_mov_b32 v9, 0
	s_and_saveexec_b32 s3, s2
	s_cbranch_execz .LBB32_8
; %bb.7:                                ;   in Loop: Header=BB32_4 Depth=1
	v_add_co_u32 v9, s4, s16, v21
	s_wait_alu 0xf1ff
	v_add_co_ci_u32_e64 v10, null, s17, 0, s4
	global_load_b64 v[9:10], v[9:10], off offset:-4
.LBB32_8:                               ;   in Loop: Header=BB32_4 Depth=1
	s_wait_alu 0xfffe
	s_or_b32 exec_lo, exec_lo, s3
	v_add_co_u32 v11, s3, v19, s26
	s_wait_alu 0xf1ff
	v_add_co_ci_u32_e64 v12, null, s27, v20, s3
	v_mov_b32_e32 v5, 0
	s_delay_alu instid0(VALU_DEP_2)
	v_cmp_gt_u64_e64 s3, s[22:23], v[11:12]
	s_and_saveexec_b32 s5, s3
	s_cbranch_execz .LBB32_10
; %bb.9:                                ;   in Loop: Header=BB32_4 Depth=1
	v_add_co_u32 v5, s4, s16, v18
	s_wait_alu 0xf1ff
	v_add_co_ci_u32_e64 v6, null, s17, v17, s4
	global_load_b64 v[5:6], v[5:6], off offset:-4
.LBB32_10:                              ;   in Loop: Header=BB32_4 Depth=1
	s_wait_alu 0xfffe
	s_or_b32 exec_lo, exec_lo, s5
	v_add_co_u32 v11, s4, v13, s26
	s_wait_alu 0xf1ff
	v_add_co_ci_u32_e64 v12, null, s27, v14, s4
	s_delay_alu instid0(VALU_DEP_1)
	v_cmp_gt_u64_e64 s4, s[22:23], v[11:12]
	v_mov_b32_e32 v11, 0
	v_mov_b32_e32 v12, 0
	s_and_saveexec_b32 s28, s4
	s_cbranch_execz .LBB32_12
; %bb.11:                               ;   in Loop: Header=BB32_4 Depth=1
	v_add_co_u32 v11, s5, s16, v3
	s_wait_alu 0xf1ff
	v_add_co_ci_u32_e64 v12, null, s17, v4, s5
	global_load_b64 v[11:12], v[11:12], off
.LBB32_12:                              ;   in Loop: Header=BB32_4 Depth=1
	s_wait_alu 0xfffe
	s_or_b32 exec_lo, exec_lo, s28
	global_load_b64 v[24:25], v2, s[8:9]
	s_wait_loadcnt 0x0
	v_mul_f32_e32 v23, s10, v25
	s_delay_alu instid0(VALU_DEP_1) | instskip(NEXT) | instid1(VALU_DEP_1)
	v_dual_mul_f32 v22, s11, v25 :: v_dual_fmac_f32 v23, s11, v24
	v_xor_b32_e32 v22, 0x80000000, v22
	s_delay_alu instid0(VALU_DEP_1)
	v_fmac_f32_e32 v22, s10, v24
	s_and_saveexec_b32 s5, vcc_lo
	s_cbranch_execnz .LBB32_16
; %bb.13:                               ;   in Loop: Header=BB32_4 Depth=1
	s_wait_alu 0xfffe
	s_or_b32 exec_lo, exec_lo, s5
	s_and_saveexec_b32 s5, s2
	s_cbranch_execnz .LBB32_17
.LBB32_14:                              ;   in Loop: Header=BB32_4 Depth=1
	s_wait_alu 0xfffe
	s_or_b32 exec_lo, exec_lo, s5
	s_and_saveexec_b32 s2, s3
	s_cbranch_execnz .LBB32_18
.LBB32_15:                              ;   in Loop: Header=BB32_4 Depth=1
	s_wait_alu 0xfffe
	s_or_b32 exec_lo, exec_lo, s2
	s_and_saveexec_b32 s2, s4
	s_cbranch_execz .LBB32_3
	s_branch .LBB32_19
.LBB32_16:                              ;   in Loop: Header=BB32_4 Depth=1
	v_mul_f32_e32 v24, v8, v23
	s_delay_alu instid0(VALU_DEP_2)
	v_mul_f32_e32 v25, v8, v22
	v_add_co_u32 v26, s28, s16, v1
	s_wait_alu 0xf1ff
	v_add_co_ci_u32_e64 v27, null, s17, 0, s28
	v_fma_f32 v24, v7, v22, -v24
	v_fmac_f32_e32 v25, v7, v23
	global_store_b64 v[26:27], v[24:25], off
	s_wait_alu 0xfffe
	s_or_b32 exec_lo, exec_lo, s5
	s_and_saveexec_b32 s5, s2
	s_cbranch_execz .LBB32_14
.LBB32_17:                              ;   in Loop: Header=BB32_4 Depth=1
	v_mul_f32_e32 v7, v10, v23
	v_mul_f32_e32 v8, v10, v22
	s_delay_alu instid0(VALU_DEP_2) | instskip(NEXT) | instid1(VALU_DEP_2)
	v_fma_f32 v7, v9, v22, -v7
	v_fmac_f32_e32 v8, v9, v23
	v_add_co_u32 v9, s2, s16, v21
	s_wait_alu 0xf1ff
	v_add_co_ci_u32_e64 v10, null, s17, 0, s2
	global_store_b64 v[9:10], v[7:8], off offset:-4
	s_wait_alu 0xfffe
	s_or_b32 exec_lo, exec_lo, s5
	s_and_saveexec_b32 s2, s3
	s_cbranch_execz .LBB32_15
.LBB32_18:                              ;   in Loop: Header=BB32_4 Depth=1
	v_mul_f32_e32 v8, v6, v23
	v_mul_f32_e32 v7, v6, v22
	s_delay_alu instid0(VALU_DEP_2) | instskip(SKIP_1) | instid1(VALU_DEP_3)
	v_fma_f32 v6, v5, v22, -v8
	v_add_co_u32 v8, vcc_lo, s16, v18
	v_fmac_f32_e32 v7, v5, v23
	s_wait_alu 0xfffd
	v_add_co_ci_u32_e64 v9, null, s17, v17, vcc_lo
	global_store_b64 v[8:9], v[6:7], off offset:-4
	s_wait_alu 0xfffe
	s_or_b32 exec_lo, exec_lo, s2
	s_and_saveexec_b32 s2, s4
	s_cbranch_execz .LBB32_3
.LBB32_19:                              ;   in Loop: Header=BB32_4 Depth=1
	v_mul_f32_e32 v5, v23, v12
	v_mul_f32_e32 v6, v22, v12
	v_add_co_u32 v7, vcc_lo, s16, v3
	s_wait_alu 0xfffd
	v_add_co_ci_u32_e64 v8, null, s17, v4, vcc_lo
	v_fma_f32 v5, v22, v11, -v5
	v_fmac_f32_e32 v6, v23, v11
	global_store_b64 v[7:8], v[5:6], off
	s_branch .LBB32_3
.LBB32_20:
	s_cbranch_execz .LBB32_22
	s_branch .LBB32_25
.LBB32_21:
.LBB32_22:
	v_cmp_gt_i64_e64 s2, 0x10000, s[14:15]
	v_dual_mov_b32 v2, 0 :: v_dual_lshlrev_b32 v1, 2, v0
	s_mov_b32 s4, 0
	s_mov_b32 s5, exec_lo
	s_and_b32 s2, s2, exec_lo
	s_cselect_b32 s3, s15, 0
	s_cselect_b32 s2, s14, 0x10000
	s_wait_alu 0xfffe
	v_cmpx_gt_i64_e64 s[2:3], v[1:2]
	s_cbranch_execz .LBB32_25
; %bb.23:
	s_load_b32 s5, s[0:1], 0xd4c
	v_lshlrev_b32_e32 v3, 5, v0
	s_add_nc_u64 s[0:1], s[6:7], s[12:13]
	v_mov_b32_e32 v1, v2
	s_delay_alu instid0(VALU_DEP_2)
	v_add_co_u32 v3, s0, s0, v3
	s_wait_alu 0xf1ff
	v_add_co_ci_u32_e64 v4, null, s1, 0, s0
	s_wait_kmcnt 0x0
	s_and_b32 s1, s5, 0xffff
	s_wait_alu 0xfffe
	s_lshl_b32 s5, s1, 5
.LBB32_24:                              ; =>This Inner Loop Header: Depth=1
	global_load_b64 v[13:14], v2, s[8:9]
	s_clause 0x1
	global_load_b128 v[5:8], v[3:4], off
	global_load_b128 v[9:12], v[3:4], off offset:16
	v_add_co_u32 v0, vcc_lo, v0, s1
	s_wait_alu 0xfffd
	v_add_co_ci_u32_e64 v1, null, 0, v1, vcc_lo
	s_delay_alu instid0(VALU_DEP_1) | instskip(NEXT) | instid1(VALU_DEP_1)
	v_lshlrev_b64_e32 v[15:16], 2, v[0:1]
	v_cmp_le_i64_e32 vcc_lo, s[2:3], v[15:16]
	s_or_b32 s4, vcc_lo, s4
	s_wait_loadcnt 0x2
	v_mul_f32_e32 v21, s10, v14
	s_delay_alu instid0(VALU_DEP_1) | instskip(SKIP_1) | instid1(VALU_DEP_1)
	v_fmac_f32_e32 v21, s11, v13
	s_wait_loadcnt 0x0
	v_dual_mul_f32 v15, s11, v14 :: v_dual_mul_f32 v22, v12, v21
	s_delay_alu instid0(VALU_DEP_1) | instskip(NEXT) | instid1(VALU_DEP_1)
	v_xor_b32_e32 v19, 0x80000000, v15
	v_fmac_f32_e32 v19, s10, v13
	s_delay_alu instid0(VALU_DEP_1) | instskip(SKIP_4) | instid1(VALU_DEP_4)
	v_mul_f32_e32 v14, v6, v19
	v_dual_mul_f32 v16, v8, v19 :: v_dual_mul_f32 v13, v6, v21
	v_mul_f32_e32 v20, v12, v19
	v_dual_mul_f32 v15, v8, v21 :: v_dual_mul_f32 v18, v10, v19
	v_mul_f32_e32 v17, v10, v21
	v_fma_f32 v13, v5, v19, -v13
	v_fmac_f32_e32 v14, v5, v21
	s_delay_alu instid0(VALU_DEP_4)
	v_fma_f32 v15, v7, v19, -v15
	v_fmac_f32_e32 v16, v7, v21
	v_fma_f32 v17, v9, v19, -v17
	v_fma_f32 v19, v11, v19, -v22
	v_fmac_f32_e32 v18, v9, v21
	v_fmac_f32_e32 v20, v11, v21
	s_clause 0x1
	global_store_b128 v[3:4], v[13:16], off
	global_store_b128 v[3:4], v[17:20], off offset:16
	s_wait_alu 0xfffe
	v_add_co_u32 v3, s0, v3, s5
	s_wait_alu 0xf1ff
	v_add_co_ci_u32_e64 v4, null, 0, v4, s0
	s_and_not1_b32 exec_lo, exec_lo, s4
	s_cbranch_execnz .LBB32_24
.LBB32_25:
	s_endpgm
	.section	.rodata,"a",@progbits
	.p2align	6, 0x0
	.amdhsa_kernel _ZN2at6native12_GLOBAL__N_125multi_tensor_apply_kernelINS1_18TensorListMetadataILi1EEENS1_27BinaryOpScalarTensorFunctorIN3c107complexIfEELi1ELi1ELi0EEEJSt10multipliesIS8_EPS8_S8_EEEvT_T0_DpT1_
		.amdhsa_group_segment_fixed_size 0
		.amdhsa_private_segment_fixed_size 0
		.amdhsa_kernarg_size 3648
		.amdhsa_user_sgpr_count 2
		.amdhsa_user_sgpr_dispatch_ptr 0
		.amdhsa_user_sgpr_queue_ptr 0
		.amdhsa_user_sgpr_kernarg_segment_ptr 1
		.amdhsa_user_sgpr_dispatch_id 0
		.amdhsa_user_sgpr_private_segment_size 0
		.amdhsa_wavefront_size32 1
		.amdhsa_uses_dynamic_stack 0
		.amdhsa_enable_private_segment 0
		.amdhsa_system_sgpr_workgroup_id_x 1
		.amdhsa_system_sgpr_workgroup_id_y 0
		.amdhsa_system_sgpr_workgroup_id_z 0
		.amdhsa_system_sgpr_workgroup_info 0
		.amdhsa_system_vgpr_workitem_id 0
		.amdhsa_next_free_vgpr 28
		.amdhsa_next_free_sgpr 29
		.amdhsa_reserve_vcc 1
		.amdhsa_float_round_mode_32 0
		.amdhsa_float_round_mode_16_64 0
		.amdhsa_float_denorm_mode_32 3
		.amdhsa_float_denorm_mode_16_64 3
		.amdhsa_fp16_overflow 0
		.amdhsa_workgroup_processor_mode 1
		.amdhsa_memory_ordered 1
		.amdhsa_forward_progress 1
		.amdhsa_inst_pref_size 12
		.amdhsa_round_robin_scheduling 0
		.amdhsa_exception_fp_ieee_invalid_op 0
		.amdhsa_exception_fp_denorm_src 0
		.amdhsa_exception_fp_ieee_div_zero 0
		.amdhsa_exception_fp_ieee_overflow 0
		.amdhsa_exception_fp_ieee_underflow 0
		.amdhsa_exception_fp_ieee_inexact 0
		.amdhsa_exception_int_div_zero 0
	.end_amdhsa_kernel
	.section	.text._ZN2at6native12_GLOBAL__N_125multi_tensor_apply_kernelINS1_18TensorListMetadataILi1EEENS1_27BinaryOpScalarTensorFunctorIN3c107complexIfEELi1ELi1ELi0EEEJSt10multipliesIS8_EPS8_S8_EEEvT_T0_DpT1_,"axG",@progbits,_ZN2at6native12_GLOBAL__N_125multi_tensor_apply_kernelINS1_18TensorListMetadataILi1EEENS1_27BinaryOpScalarTensorFunctorIN3c107complexIfEELi1ELi1ELi0EEEJSt10multipliesIS8_EPS8_S8_EEEvT_T0_DpT1_,comdat
.Lfunc_end32:
	.size	_ZN2at6native12_GLOBAL__N_125multi_tensor_apply_kernelINS1_18TensorListMetadataILi1EEENS1_27BinaryOpScalarTensorFunctorIN3c107complexIfEELi1ELi1ELi0EEEJSt10multipliesIS8_EPS8_S8_EEEvT_T0_DpT1_, .Lfunc_end32-_ZN2at6native12_GLOBAL__N_125multi_tensor_apply_kernelINS1_18TensorListMetadataILi1EEENS1_27BinaryOpScalarTensorFunctorIN3c107complexIfEELi1ELi1ELi0EEEJSt10multipliesIS8_EPS8_S8_EEEvT_T0_DpT1_
                                        ; -- End function
	.set _ZN2at6native12_GLOBAL__N_125multi_tensor_apply_kernelINS1_18TensorListMetadataILi1EEENS1_27BinaryOpScalarTensorFunctorIN3c107complexIfEELi1ELi1ELi0EEEJSt10multipliesIS8_EPS8_S8_EEEvT_T0_DpT1_.num_vgpr, 28
	.set _ZN2at6native12_GLOBAL__N_125multi_tensor_apply_kernelINS1_18TensorListMetadataILi1EEENS1_27BinaryOpScalarTensorFunctorIN3c107complexIfEELi1ELi1ELi0EEEJSt10multipliesIS8_EPS8_S8_EEEvT_T0_DpT1_.num_agpr, 0
	.set _ZN2at6native12_GLOBAL__N_125multi_tensor_apply_kernelINS1_18TensorListMetadataILi1EEENS1_27BinaryOpScalarTensorFunctorIN3c107complexIfEELi1ELi1ELi0EEEJSt10multipliesIS8_EPS8_S8_EEEvT_T0_DpT1_.numbered_sgpr, 29
	.set _ZN2at6native12_GLOBAL__N_125multi_tensor_apply_kernelINS1_18TensorListMetadataILi1EEENS1_27BinaryOpScalarTensorFunctorIN3c107complexIfEELi1ELi1ELi0EEEJSt10multipliesIS8_EPS8_S8_EEEvT_T0_DpT1_.num_named_barrier, 0
	.set _ZN2at6native12_GLOBAL__N_125multi_tensor_apply_kernelINS1_18TensorListMetadataILi1EEENS1_27BinaryOpScalarTensorFunctorIN3c107complexIfEELi1ELi1ELi0EEEJSt10multipliesIS8_EPS8_S8_EEEvT_T0_DpT1_.private_seg_size, 0
	.set _ZN2at6native12_GLOBAL__N_125multi_tensor_apply_kernelINS1_18TensorListMetadataILi1EEENS1_27BinaryOpScalarTensorFunctorIN3c107complexIfEELi1ELi1ELi0EEEJSt10multipliesIS8_EPS8_S8_EEEvT_T0_DpT1_.uses_vcc, 1
	.set _ZN2at6native12_GLOBAL__N_125multi_tensor_apply_kernelINS1_18TensorListMetadataILi1EEENS1_27BinaryOpScalarTensorFunctorIN3c107complexIfEELi1ELi1ELi0EEEJSt10multipliesIS8_EPS8_S8_EEEvT_T0_DpT1_.uses_flat_scratch, 0
	.set _ZN2at6native12_GLOBAL__N_125multi_tensor_apply_kernelINS1_18TensorListMetadataILi1EEENS1_27BinaryOpScalarTensorFunctorIN3c107complexIfEELi1ELi1ELi0EEEJSt10multipliesIS8_EPS8_S8_EEEvT_T0_DpT1_.has_dyn_sized_stack, 0
	.set _ZN2at6native12_GLOBAL__N_125multi_tensor_apply_kernelINS1_18TensorListMetadataILi1EEENS1_27BinaryOpScalarTensorFunctorIN3c107complexIfEELi1ELi1ELi0EEEJSt10multipliesIS8_EPS8_S8_EEEvT_T0_DpT1_.has_recursion, 0
	.set _ZN2at6native12_GLOBAL__N_125multi_tensor_apply_kernelINS1_18TensorListMetadataILi1EEENS1_27BinaryOpScalarTensorFunctorIN3c107complexIfEELi1ELi1ELi0EEEJSt10multipliesIS8_EPS8_S8_EEEvT_T0_DpT1_.has_indirect_call, 0
	.section	.AMDGPU.csdata,"",@progbits
; Kernel info:
; codeLenInByte = 1532
; TotalNumSgprs: 31
; NumVgprs: 28
; ScratchSize: 0
; MemoryBound: 0
; FloatMode: 240
; IeeeMode: 1
; LDSByteSize: 0 bytes/workgroup (compile time only)
; SGPRBlocks: 0
; VGPRBlocks: 3
; NumSGPRsForWavesPerEU: 31
; NumVGPRsForWavesPerEU: 28
; Occupancy: 16
; WaveLimiterHint : 0
; COMPUTE_PGM_RSRC2:SCRATCH_EN: 0
; COMPUTE_PGM_RSRC2:USER_SGPR: 2
; COMPUTE_PGM_RSRC2:TRAP_HANDLER: 0
; COMPUTE_PGM_RSRC2:TGID_X_EN: 1
; COMPUTE_PGM_RSRC2:TGID_Y_EN: 0
; COMPUTE_PGM_RSRC2:TGID_Z_EN: 0
; COMPUTE_PGM_RSRC2:TIDIG_COMP_CNT: 0
	.section	.text._ZN2at6native12_GLOBAL__N_125multi_tensor_apply_kernelINS1_18TensorListMetadataILi1EEENS1_27BinaryOpScalarTensorFunctorIbLi1ELi1ELi0EEEJSt10multipliesIbEPbbEEEvT_T0_DpT1_,"axG",@progbits,_ZN2at6native12_GLOBAL__N_125multi_tensor_apply_kernelINS1_18TensorListMetadataILi1EEENS1_27BinaryOpScalarTensorFunctorIbLi1ELi1ELi0EEEJSt10multipliesIbEPbbEEEvT_T0_DpT1_,comdat
	.globl	_ZN2at6native12_GLOBAL__N_125multi_tensor_apply_kernelINS1_18TensorListMetadataILi1EEENS1_27BinaryOpScalarTensorFunctorIbLi1ELi1ELi0EEEJSt10multipliesIbEPbbEEEvT_T0_DpT1_ ; -- Begin function _ZN2at6native12_GLOBAL__N_125multi_tensor_apply_kernelINS1_18TensorListMetadataILi1EEENS1_27BinaryOpScalarTensorFunctorIbLi1ELi1ELi0EEEJSt10multipliesIbEPbbEEEvT_T0_DpT1_
	.p2align	8
	.type	_ZN2at6native12_GLOBAL__N_125multi_tensor_apply_kernelINS1_18TensorListMetadataILi1EEENS1_27BinaryOpScalarTensorFunctorIbLi1ELi1ELi0EEEJSt10multipliesIbEPbbEEEvT_T0_DpT1_,@function
_ZN2at6native12_GLOBAL__N_125multi_tensor_apply_kernelINS1_18TensorListMetadataILi1EEENS1_27BinaryOpScalarTensorFunctorIbLi1ELi1ELi0EEEJSt10multipliesIbEPbbEEEvT_T0_DpT1_: ; @_ZN2at6native12_GLOBAL__N_125multi_tensor_apply_kernelINS1_18TensorListMetadataILi1EEENS1_27BinaryOpScalarTensorFunctorIbLi1ELi1ELi0EEEJSt10multipliesIbEPbbEEEvT_T0_DpT1_
; %bb.0:
	s_clause 0x1
	s_load_b96 s[8:10], s[0:1], 0xd30
	s_load_u8 s6, s[0:1], ttmp9 offset:0x6e0
	s_mov_b32 s2, ttmp9
	s_mov_b32 s3, 0
	s_delay_alu instid0(SALU_CYCLE_1) | instskip(SKIP_1) | instid1(SALU_CYCLE_1)
	s_mul_u64 s[4:5], s[2:3], 3
	s_add_nc_u64 s[2:3], s[0:1], s[2:3]
	s_add_nc_u64 s[2:3], s[2:3], s[4:5]
	s_wait_kmcnt 0x0
	s_bitcmp1_b32 s10, 0
	s_cselect_b32 s22, -1, 0
	s_lshl_b32 s6, s6, 3
	s_clause 0x2
	s_load_b64 s[4:5], s[0:1], s6 offset:0x370
	s_load_b64 s[6:7], s[0:1], s6 offset:0x0
	s_load_b32 s2, s[2:3], 0x820
	s_wait_kmcnt 0x0
	s_or_b32 s10, s4, s6
	s_ashr_i32 s3, s2, 31
	s_and_b32 s12, s10, 3
	s_lshl_b64 s[10:11], s[2:3], 16
	s_cmp_eq_u32 s12, 0
	s_sub_nc_u64 s[12:13], s[4:5], s[10:11]
	s_cbranch_scc1 .LBB33_21
; %bb.1:
	v_cmp_lt_i64_e64 s2, s[12:13], 1
	s_and_b32 vcc_lo, exec_lo, s2
	s_cbranch_vccnz .LBB33_20
; %bb.2:
	s_load_b32 s2, s[0:1], 0xd4c
	v_cmp_gt_i64_e64 s4, 0x10000, s[12:13]
	s_mov_b32 s19, 0
	v_cmp_gt_u64_e64 s16, 0x10000, s[12:13]
	s_mov_b32 s5, s19
	v_add_co_u32 v12, s3, s10, v0
	s_and_b32 s4, s4, exec_lo
	s_cselect_b32 s15, s13, 0
	s_cselect_b32 s14, s12, 0x10000
	v_add_co_ci_u32_e64 v13, null, s11, 0, s3
	s_mov_b32 s3, s19
	v_add_co_u32 v2, vcc_lo, s6, v12
	s_delay_alu instid0(VALU_DEP_1)
	v_add_co_ci_u32_e64 v3, null, s7, v13, vcc_lo
	v_mov_b32_e32 v1, 0
	s_wait_kmcnt 0x0
	s_and_b32 s18, s2, 0xffff
	s_and_b32 s2, s16, exec_lo
	s_mul_i32 s4, s18, 3
	s_cselect_b32 s17, s13, 0
	s_add_nc_u64 s[20:21], s[10:11], s[4:5]
	s_cselect_b32 s16, s12, 0x10000
	s_add_nc_u64 s[20:21], s[6:7], s[20:21]
	s_lshl_b32 s2, s18, 1
	v_add_co_u32 v4, s5, s20, v0
	s_delay_alu instid0(VALU_DEP_1)
	v_add_co_ci_u32_e64 v5, null, s21, 0, s5
	s_wait_alu 0xfffe
	s_add_nc_u64 s[20:21], s[10:11], s[2:3]
	v_add_co_u32 v6, s3, s4, v0
	s_wait_alu 0xfffe
	s_add_nc_u64 s[4:5], s[6:7], s[20:21]
	v_add_co_ci_u32_e64 v7, null, 0, 0, s3
	s_wait_alu 0xfffe
	v_add_co_u32 v8, s3, s4, v0
	v_add_co_u32 v10, s2, s2, v0
	s_wait_alu 0xf1ff
	v_add_co_ci_u32_e64 v9, null, s5, 0, s3
	v_add_co_ci_u32_e64 v11, null, 0, 0, s2
	s_add_nc_u64 s[2:3], s[6:7], s[18:19]
	s_mov_b64 s[20:21], 0
	s_wait_alu 0xfffe
	v_add_co_u32 v12, vcc_lo, s2, v12
	v_add_co_u32 v14, s2, v0, s18
	s_wait_alu 0xfffd
	v_add_co_ci_u32_e64 v13, null, s3, v13, vcc_lo
	s_wait_alu 0xf1ff
	v_add_co_ci_u32_e64 v15, null, 0, 0, s2
	s_lshl_b32 s18, s18, 2
	s_branch .LBB33_4
.LBB33_3:                               ;   in Loop: Header=BB33_4 Depth=1
	s_wait_alu 0xfffe
	s_or_b32 exec_lo, exec_lo, s2
	s_add_nc_u64 s[20:21], s[20:21], s[18:19]
	s_wait_alu 0xfffe
	v_cmp_lt_i64_e64 s2, s[20:21], s[14:15]
	s_and_b32 vcc_lo, exec_lo, s2
	s_wait_alu 0xfffe
	s_cbranch_vccz .LBB33_20
.LBB33_4:                               ; =>This Inner Loop Header: Depth=1
	v_add_co_u32 v16, s2, v0, s20
	s_wait_alu 0xf1ff
	v_add_co_ci_u32_e64 v17, null, 0, s21, s2
	s_delay_alu instid0(VALU_DEP_1)
	v_cmp_gt_u64_e32 vcc_lo, s[16:17], v[16:17]
	v_mov_b32_e32 v17, 0
	s_and_saveexec_b32 s3, vcc_lo
	s_cbranch_execz .LBB33_6
; %bb.5:                                ;   in Loop: Header=BB33_4 Depth=1
	v_add_co_u32 v16, s2, v2, s20
	s_wait_alu 0xf1ff
	v_add_co_ci_u32_e64 v17, null, s21, v3, s2
	global_load_u8 v17, v[16:17], off
.LBB33_6:                               ;   in Loop: Header=BB33_4 Depth=1
	s_wait_alu 0xfffe
	s_or_b32 exec_lo, exec_lo, s3
	v_add_co_u32 v18, s2, v14, s20
	s_wait_alu 0xf1ff
	v_add_co_ci_u32_e64 v19, null, s21, v15, s2
	v_mov_b32_e32 v16, 0
	s_delay_alu instid0(VALU_DEP_2)
	v_cmp_gt_u64_e64 s2, s[16:17], v[18:19]
	v_mov_b32_e32 v18, 0
	s_and_saveexec_b32 s4, s2
	s_cbranch_execz .LBB33_8
; %bb.7:                                ;   in Loop: Header=BB33_4 Depth=1
	v_add_co_u32 v18, s3, v12, s20
	s_wait_alu 0xf1ff
	v_add_co_ci_u32_e64 v19, null, s21, v13, s3
	global_load_u8 v18, v[18:19], off
.LBB33_8:                               ;   in Loop: Header=BB33_4 Depth=1
	s_wait_alu 0xfffe
	s_or_b32 exec_lo, exec_lo, s4
	v_add_co_u32 v19, s3, v10, s20
	s_wait_alu 0xf1ff
	v_add_co_ci_u32_e64 v20, null, s21, v11, s3
	s_delay_alu instid0(VALU_DEP_1)
	v_cmp_gt_u64_e64 s3, s[16:17], v[19:20]
	s_and_saveexec_b32 s5, s3
	s_cbranch_execz .LBB33_10
; %bb.9:                                ;   in Loop: Header=BB33_4 Depth=1
	v_add_co_u32 v19, s4, v8, s20
	s_wait_alu 0xf1ff
	v_add_co_ci_u32_e64 v20, null, s21, v9, s4
	global_load_u8 v16, v[19:20], off
.LBB33_10:                              ;   in Loop: Header=BB33_4 Depth=1
	s_wait_alu 0xfffe
	s_or_b32 exec_lo, exec_lo, s5
	v_add_co_u32 v19, s4, v6, s20
	s_wait_alu 0xf1ff
	v_add_co_ci_u32_e64 v20, null, s21, v7, s4
	s_delay_alu instid0(VALU_DEP_1)
	v_cmp_gt_u64_e64 s4, s[16:17], v[19:20]
	v_mov_b32_e32 v19, 0
	s_and_saveexec_b32 s23, s4
	s_cbranch_execz .LBB33_12
; %bb.11:                               ;   in Loop: Header=BB33_4 Depth=1
	v_add_co_u32 v19, s5, v4, s20
	s_wait_alu 0xf1ff
	v_add_co_ci_u32_e64 v20, null, s21, v5, s5
	global_load_u8 v19, v[19:20], off
.LBB33_12:                              ;   in Loop: Header=BB33_4 Depth=1
	s_or_b32 exec_lo, exec_lo, s23
	global_load_u8 v20, v1, s[8:9]
	s_wait_loadcnt 0x1
	v_and_b32_e32 v17, 0xff, v17
	s_wait_loadcnt 0x0
	v_readfirstlane_b32 s5, v20
	s_cmp_lg_u32 s5, 0
	v_cmp_ne_u16_e64 s5, 0, v17
	s_cselect_b32 s23, -1, 0
	s_delay_alu instid0(SALU_CYCLE_1)
	s_and_b32 s23, s22, s23
	s_and_saveexec_b32 s24, vcc_lo
	s_cbranch_execz .LBB33_14
; %bb.13:                               ;   in Loop: Header=BB33_4 Depth=1
	s_and_b32 s5, s23, s5
	v_add_co_u32 v20, vcc_lo, v2, s20
	s_wait_alu 0xfffe
	v_cndmask_b32_e64 v17, 0, 1, s5
	s_wait_alu 0xfffd
	v_add_co_ci_u32_e64 v21, null, s21, v3, vcc_lo
	global_store_b8 v[20:21], v17, off
.LBB33_14:                              ;   in Loop: Header=BB33_4 Depth=1
	s_or_b32 exec_lo, exec_lo, s24
	v_and_b32_e32 v17, 0xff, v18
	s_delay_alu instid0(VALU_DEP_1)
	v_cmp_ne_u16_e32 vcc_lo, 0, v17
	s_and_saveexec_b32 s5, s2
	s_cbranch_execz .LBB33_16
; %bb.15:                               ;   in Loop: Header=BB33_4 Depth=1
	s_and_b32 s2, s23, vcc_lo
	v_add_co_u32 v17, vcc_lo, v12, s20
	s_wait_alu 0xfffe
	v_cndmask_b32_e64 v20, 0, 1, s2
	s_wait_alu 0xfffd
	v_add_co_ci_u32_e64 v18, null, s21, v13, vcc_lo
	global_store_b8 v[17:18], v20, off
.LBB33_16:                              ;   in Loop: Header=BB33_4 Depth=1
	s_wait_alu 0xfffe
	s_or_b32 exec_lo, exec_lo, s5
	v_and_b32_e32 v16, 0xff, v16
	s_delay_alu instid0(VALU_DEP_1)
	v_cmp_ne_u16_e32 vcc_lo, 0, v16
	s_and_saveexec_b32 s2, s3
	s_cbranch_execz .LBB33_18
; %bb.17:                               ;   in Loop: Header=BB33_4 Depth=1
	s_and_b32 s3, s23, vcc_lo
	v_add_co_u32 v16, vcc_lo, v8, s20
	s_wait_alu 0xfffe
	v_cndmask_b32_e64 v18, 0, 1, s3
	s_wait_alu 0xfffd
	v_add_co_ci_u32_e64 v17, null, s21, v9, vcc_lo
	global_store_b8 v[16:17], v18, off
.LBB33_18:                              ;   in Loop: Header=BB33_4 Depth=1
	s_wait_alu 0xfffe
	s_or_b32 exec_lo, exec_lo, s2
	v_and_b32_e32 v16, 0xff, v19
	s_delay_alu instid0(VALU_DEP_1)
	v_cmp_ne_u16_e32 vcc_lo, 0, v16
	s_and_saveexec_b32 s2, s4
	s_cbranch_execz .LBB33_3
; %bb.19:                               ;   in Loop: Header=BB33_4 Depth=1
	s_and_b32 s3, s23, vcc_lo
	v_add_co_u32 v16, vcc_lo, v4, s20
	s_wait_alu 0xfffe
	v_cndmask_b32_e64 v18, 0, 1, s3
	s_wait_alu 0xfffd
	v_add_co_ci_u32_e64 v17, null, s21, v5, vcc_lo
	global_store_b8 v[16:17], v18, off
	s_branch .LBB33_3
.LBB33_20:
	s_cbranch_execz .LBB33_22
	s_branch .LBB33_25
.LBB33_21:
.LBB33_22:
	v_cmp_gt_i64_e64 s2, 0x10000, s[12:13]
	v_dual_mov_b32 v2, 0 :: v_dual_lshlrev_b32 v1, 2, v0
	s_mov_b32 s3, 0
	s_and_b32 s2, s2, exec_lo
	s_cselect_b32 s5, s13, 0
	s_cselect_b32 s4, s12, 0x10000
	s_mov_b32 s2, exec_lo
	s_wait_alu 0xfffe
	v_cmpx_gt_i64_e64 s[4:5], v[1:2]
	s_cbranch_execz .LBB33_25
; %bb.23:
	s_load_b32 s2, s[0:1], 0xd4c
	s_add_nc_u64 s[0:1], s[6:7], s[10:11]
	s_delay_alu instid0(SALU_CYCLE_1) | instskip(SKIP_3) | instid1(VALU_DEP_3)
	v_add_co_u32 v3, s0, s0, v1
	s_wait_alu 0xf1ff
	v_add_co_ci_u32_e64 v4, null, s1, 0, s0
	v_mov_b32_e32 v1, v2
	v_add_co_u32 v3, vcc_lo, v3, 1
	s_wait_alu 0xfffd
	s_delay_alu instid0(VALU_DEP_3)
	v_add_co_ci_u32_e64 v4, null, 0, v4, vcc_lo
	s_wait_kmcnt 0x0
	s_and_b32 s6, s2, 0xffff
	s_wait_alu 0xfffe
	s_lshl_b32 s7, s6, 2
.LBB33_24:                              ; =>This Inner Loop Header: Depth=1
	global_load_u8 v5, v2, s[8:9]
	global_load_b32 v6, v[3:4], off offset:-1
	s_wait_loadcnt 0x1
	v_readfirstlane_b32 s0, v5
	s_wait_loadcnt 0x0
	v_lshrrev_b32_e32 v5, 8, v6
	v_lshrrev_b32_e32 v7, 16, v6
	v_and_b32_e32 v8, 0xff, v6
	v_lshrrev_b32_e32 v6, 24, v6
	s_cmp_lg_u32 s0, 0
	v_and_b32_e32 v5, 0xff, v5
	s_cselect_b32 s2, -1, 0
	v_and_b32_e32 v7, 0xff, v7
	v_cmp_ne_u16_e64 s0, 0, v6
	s_wait_alu 0xfffe
	s_and_b32 s10, s22, s2
	v_cmp_ne_u16_e64 s1, 0, v5
	v_cmp_ne_u16_e32 vcc_lo, 0, v8
	v_cmp_ne_u16_e64 s2, 0, v7
	s_wait_alu 0xfffe
	s_and_b32 s0, s10, s0
	s_wait_alu 0xfffe
	v_cndmask_b32_e64 v5, 0, 1, s0
	s_and_b32 s0, s10, s1
	s_wait_alu 0xfffe
	v_cndmask_b32_e64 v6, 0, 1, s0
	s_and_b32 s0, s10, vcc_lo
	v_lshlrev_b16 v5, 8, v5
	s_wait_alu 0xfffe
	v_cndmask_b32_e64 v7, 0, 1, s0
	s_and_b32 s0, s10, s2
	v_lshlrev_b16 v6, 8, v6
	s_wait_alu 0xfffe
	v_cndmask_b32_e64 v8, 0, 1, s0
	v_add_co_u32 v0, vcc_lo, v0, s6
	s_wait_alu 0xfffd
	v_add_co_ci_u32_e64 v1, null, 0, v1, vcc_lo
	s_delay_alu instid0(VALU_DEP_3) | instskip(SKIP_1) | instid1(VALU_DEP_2)
	v_or_b32_e32 v5, v8, v5
	v_or_b32_e32 v6, v7, v6
	v_lshlrev_b32_e32 v7, 16, v5
	s_delay_alu instid0(VALU_DEP_2) | instskip(SKIP_1) | instid1(VALU_DEP_2)
	v_and_b32_e32 v8, 0xffff, v6
	v_lshlrev_b64_e32 v[5:6], 2, v[0:1]
	v_or_b32_e32 v7, v8, v7
	s_delay_alu instid0(VALU_DEP_2)
	v_cmp_le_i64_e32 vcc_lo, s[4:5], v[5:6]
	global_store_b32 v[3:4], v7, off offset:-1
	v_add_co_u32 v3, s0, v3, s7
	s_wait_alu 0xf1ff
	v_add_co_ci_u32_e64 v4, null, 0, v4, s0
	s_or_b32 s3, vcc_lo, s3
	s_wait_alu 0xfffe
	s_and_not1_b32 exec_lo, exec_lo, s3
	s_cbranch_execnz .LBB33_24
.LBB33_25:
	s_endpgm
	.section	.rodata,"a",@progbits
	.p2align	6, 0x0
	.amdhsa_kernel _ZN2at6native12_GLOBAL__N_125multi_tensor_apply_kernelINS1_18TensorListMetadataILi1EEENS1_27BinaryOpScalarTensorFunctorIbLi1ELi1ELi0EEEJSt10multipliesIbEPbbEEEvT_T0_DpT1_
		.amdhsa_group_segment_fixed_size 0
		.amdhsa_private_segment_fixed_size 0
		.amdhsa_kernarg_size 3648
		.amdhsa_user_sgpr_count 2
		.amdhsa_user_sgpr_dispatch_ptr 0
		.amdhsa_user_sgpr_queue_ptr 0
		.amdhsa_user_sgpr_kernarg_segment_ptr 1
		.amdhsa_user_sgpr_dispatch_id 0
		.amdhsa_user_sgpr_private_segment_size 0
		.amdhsa_wavefront_size32 1
		.amdhsa_uses_dynamic_stack 0
		.amdhsa_enable_private_segment 0
		.amdhsa_system_sgpr_workgroup_id_x 1
		.amdhsa_system_sgpr_workgroup_id_y 0
		.amdhsa_system_sgpr_workgroup_id_z 0
		.amdhsa_system_sgpr_workgroup_info 0
		.amdhsa_system_vgpr_workitem_id 0
		.amdhsa_next_free_vgpr 22
		.amdhsa_next_free_sgpr 25
		.amdhsa_reserve_vcc 1
		.amdhsa_float_round_mode_32 0
		.amdhsa_float_round_mode_16_64 0
		.amdhsa_float_denorm_mode_32 3
		.amdhsa_float_denorm_mode_16_64 3
		.amdhsa_fp16_overflow 0
		.amdhsa_workgroup_processor_mode 1
		.amdhsa_memory_ordered 1
		.amdhsa_forward_progress 1
		.amdhsa_inst_pref_size 13
		.amdhsa_round_robin_scheduling 0
		.amdhsa_exception_fp_ieee_invalid_op 0
		.amdhsa_exception_fp_denorm_src 0
		.amdhsa_exception_fp_ieee_div_zero 0
		.amdhsa_exception_fp_ieee_overflow 0
		.amdhsa_exception_fp_ieee_underflow 0
		.amdhsa_exception_fp_ieee_inexact 0
		.amdhsa_exception_int_div_zero 0
	.end_amdhsa_kernel
	.section	.text._ZN2at6native12_GLOBAL__N_125multi_tensor_apply_kernelINS1_18TensorListMetadataILi1EEENS1_27BinaryOpScalarTensorFunctorIbLi1ELi1ELi0EEEJSt10multipliesIbEPbbEEEvT_T0_DpT1_,"axG",@progbits,_ZN2at6native12_GLOBAL__N_125multi_tensor_apply_kernelINS1_18TensorListMetadataILi1EEENS1_27BinaryOpScalarTensorFunctorIbLi1ELi1ELi0EEEJSt10multipliesIbEPbbEEEvT_T0_DpT1_,comdat
.Lfunc_end33:
	.size	_ZN2at6native12_GLOBAL__N_125multi_tensor_apply_kernelINS1_18TensorListMetadataILi1EEENS1_27BinaryOpScalarTensorFunctorIbLi1ELi1ELi0EEEJSt10multipliesIbEPbbEEEvT_T0_DpT1_, .Lfunc_end33-_ZN2at6native12_GLOBAL__N_125multi_tensor_apply_kernelINS1_18TensorListMetadataILi1EEENS1_27BinaryOpScalarTensorFunctorIbLi1ELi1ELi0EEEJSt10multipliesIbEPbbEEEvT_T0_DpT1_
                                        ; -- End function
	.set _ZN2at6native12_GLOBAL__N_125multi_tensor_apply_kernelINS1_18TensorListMetadataILi1EEENS1_27BinaryOpScalarTensorFunctorIbLi1ELi1ELi0EEEJSt10multipliesIbEPbbEEEvT_T0_DpT1_.num_vgpr, 22
	.set _ZN2at6native12_GLOBAL__N_125multi_tensor_apply_kernelINS1_18TensorListMetadataILi1EEENS1_27BinaryOpScalarTensorFunctorIbLi1ELi1ELi0EEEJSt10multipliesIbEPbbEEEvT_T0_DpT1_.num_agpr, 0
	.set _ZN2at6native12_GLOBAL__N_125multi_tensor_apply_kernelINS1_18TensorListMetadataILi1EEENS1_27BinaryOpScalarTensorFunctorIbLi1ELi1ELi0EEEJSt10multipliesIbEPbbEEEvT_T0_DpT1_.numbered_sgpr, 25
	.set _ZN2at6native12_GLOBAL__N_125multi_tensor_apply_kernelINS1_18TensorListMetadataILi1EEENS1_27BinaryOpScalarTensorFunctorIbLi1ELi1ELi0EEEJSt10multipliesIbEPbbEEEvT_T0_DpT1_.num_named_barrier, 0
	.set _ZN2at6native12_GLOBAL__N_125multi_tensor_apply_kernelINS1_18TensorListMetadataILi1EEENS1_27BinaryOpScalarTensorFunctorIbLi1ELi1ELi0EEEJSt10multipliesIbEPbbEEEvT_T0_DpT1_.private_seg_size, 0
	.set _ZN2at6native12_GLOBAL__N_125multi_tensor_apply_kernelINS1_18TensorListMetadataILi1EEENS1_27BinaryOpScalarTensorFunctorIbLi1ELi1ELi0EEEJSt10multipliesIbEPbbEEEvT_T0_DpT1_.uses_vcc, 1
	.set _ZN2at6native12_GLOBAL__N_125multi_tensor_apply_kernelINS1_18TensorListMetadataILi1EEENS1_27BinaryOpScalarTensorFunctorIbLi1ELi1ELi0EEEJSt10multipliesIbEPbbEEEvT_T0_DpT1_.uses_flat_scratch, 0
	.set _ZN2at6native12_GLOBAL__N_125multi_tensor_apply_kernelINS1_18TensorListMetadataILi1EEENS1_27BinaryOpScalarTensorFunctorIbLi1ELi1ELi0EEEJSt10multipliesIbEPbbEEEvT_T0_DpT1_.has_dyn_sized_stack, 0
	.set _ZN2at6native12_GLOBAL__N_125multi_tensor_apply_kernelINS1_18TensorListMetadataILi1EEENS1_27BinaryOpScalarTensorFunctorIbLi1ELi1ELi0EEEJSt10multipliesIbEPbbEEEvT_T0_DpT1_.has_recursion, 0
	.set _ZN2at6native12_GLOBAL__N_125multi_tensor_apply_kernelINS1_18TensorListMetadataILi1EEENS1_27BinaryOpScalarTensorFunctorIbLi1ELi1ELi0EEEJSt10multipliesIbEPbbEEEvT_T0_DpT1_.has_indirect_call, 0
	.section	.AMDGPU.csdata,"",@progbits
; Kernel info:
; codeLenInByte = 1616
; TotalNumSgprs: 27
; NumVgprs: 22
; ScratchSize: 0
; MemoryBound: 0
; FloatMode: 240
; IeeeMode: 1
; LDSByteSize: 0 bytes/workgroup (compile time only)
; SGPRBlocks: 0
; VGPRBlocks: 2
; NumSGPRsForWavesPerEU: 27
; NumVGPRsForWavesPerEU: 22
; Occupancy: 16
; WaveLimiterHint : 0
; COMPUTE_PGM_RSRC2:SCRATCH_EN: 0
; COMPUTE_PGM_RSRC2:USER_SGPR: 2
; COMPUTE_PGM_RSRC2:TRAP_HANDLER: 0
; COMPUTE_PGM_RSRC2:TGID_X_EN: 1
; COMPUTE_PGM_RSRC2:TGID_Y_EN: 0
; COMPUTE_PGM_RSRC2:TGID_Z_EN: 0
; COMPUTE_PGM_RSRC2:TIDIG_COMP_CNT: 0
	.section	.text._ZN2at6native12_GLOBAL__N_125multi_tensor_apply_kernelINS1_18TensorListMetadataILi1EEENS1_27BinaryOpScalarTensorFunctorIN3c104HalfELi1ELi1ELi0EEEJSt10multipliesIfEPS7_fEEEvT_T0_DpT1_,"axG",@progbits,_ZN2at6native12_GLOBAL__N_125multi_tensor_apply_kernelINS1_18TensorListMetadataILi1EEENS1_27BinaryOpScalarTensorFunctorIN3c104HalfELi1ELi1ELi0EEEJSt10multipliesIfEPS7_fEEEvT_T0_DpT1_,comdat
	.globl	_ZN2at6native12_GLOBAL__N_125multi_tensor_apply_kernelINS1_18TensorListMetadataILi1EEENS1_27BinaryOpScalarTensorFunctorIN3c104HalfELi1ELi1ELi0EEEJSt10multipliesIfEPS7_fEEEvT_T0_DpT1_ ; -- Begin function _ZN2at6native12_GLOBAL__N_125multi_tensor_apply_kernelINS1_18TensorListMetadataILi1EEENS1_27BinaryOpScalarTensorFunctorIN3c104HalfELi1ELi1ELi0EEEJSt10multipliesIfEPS7_fEEEvT_T0_DpT1_
	.p2align	8
	.type	_ZN2at6native12_GLOBAL__N_125multi_tensor_apply_kernelINS1_18TensorListMetadataILi1EEENS1_27BinaryOpScalarTensorFunctorIN3c104HalfELi1ELi1ELi0EEEJSt10multipliesIfEPS7_fEEEvT_T0_DpT1_,@function
_ZN2at6native12_GLOBAL__N_125multi_tensor_apply_kernelINS1_18TensorListMetadataILi1EEENS1_27BinaryOpScalarTensorFunctorIN3c104HalfELi1ELi1ELi0EEEJSt10multipliesIfEPS7_fEEEvT_T0_DpT1_: ; @_ZN2at6native12_GLOBAL__N_125multi_tensor_apply_kernelINS1_18TensorListMetadataILi1EEENS1_27BinaryOpScalarTensorFunctorIN3c104HalfELi1ELi1ELi0EEEJSt10multipliesIfEPS7_fEEEvT_T0_DpT1_
; %bb.0:
	s_mov_b32 s2, ttmp9
	s_mov_b32 s3, 0
	s_delay_alu instid0(SALU_CYCLE_1)
	s_mul_u64 s[4:5], s[2:3], 3
	s_add_nc_u64 s[6:7], s[0:1], s[2:3]
	s_mov_b32 s17, s3
	s_add_nc_u64 s[4:5], s[6:7], s[4:5]
	s_clause 0x1
	s_load_b32 s4, s[4:5], 0x820
	s_load_u8 s2, s[0:1], ttmp9 offset:0x6e0
	s_wait_kmcnt 0x0
	s_ashr_i32 s5, s4, 31
	s_lshl_b32 s2, s2, 3
	s_clause 0x2
	s_load_b64 s[6:7], s[0:1], s2 offset:0x0
	s_load_b64 s[14:15], s[0:1], s2 offset:0x370
	s_load_b96 s[8:10], s[0:1], 0xd30
	s_lshl_b64 s[12:13], s[4:5], 17
	s_lshl_b64 s[4:5], s[4:5], 16
	s_wait_kmcnt 0x0
	s_and_b32 s2, s6, 7
	s_and_b32 s16, s14, 3
	s_sub_nc_u64 s[14:15], s[14:15], s[4:5]
	s_or_b64 s[2:3], s[2:3], s[16:17]
	s_delay_alu instid0(SALU_CYCLE_1)
	s_cmp_eq_u64 s[2:3], 0
	s_cbranch_scc1 .LBB34_21
; %bb.1:
	v_cmp_lt_i64_e64 s2, s[14:15], 1
	s_and_b32 vcc_lo, exec_lo, s2
	s_cbranch_vccnz .LBB34_20
; %bb.2:
	s_load_b32 s2, s[0:1], 0xd4c
	v_cmp_gt_i64_e64 s11, 0x10000, s[14:15]
	v_lshlrev_b32_e32 v1, 1, v0
	s_add_nc_u64 s[4:5], s[6:7], s[12:13]
	v_cmp_gt_u64_e64 s18, 0x10000, s[14:15]
	v_mov_b32_e32 v5, 0
	s_mov_b32 s3, 0
	v_add_co_u32 v1, s16, s4, v1
	s_and_b32 s11, s11, exec_lo
	v_add_co_ci_u32_e64 v2, null, s5, 0, s16
	s_cselect_b32 s17, s15, 0
	s_cselect_b32 s16, s14, 0x10000
	s_wait_kmcnt 0x0
	s_and_b32 s2, s2, 0xffff
	s_and_b32 s11, s18, exec_lo
	v_add_co_u32 v6, s24, v0, s2
	s_cselect_b32 s19, s15, 0
	s_cselect_b32 s18, s14, 0x10000
	s_lshl_b32 s11, s2, 1
	v_lshlrev_b32_e32 v3, 1, v6
	s_mul_i32 s21, s2, 3
	v_add_co_u32 v10, s11, s11, v0
	v_add_co_u32 v7, s21, s21, v0
	s_delay_alu instid0(VALU_DEP_3)
	v_add_co_u32 v3, s4, s4, v3
	s_wait_alu 0xf1ff
	v_add_co_ci_u32_e64 v8, null, 0, 0, s21
	v_add_co_ci_u32_e64 v9, null, 0, 0, s24
	;; [unrolled: 1-line block ×4, first 2 shown]
	s_lshl_b32 s20, s2, 2
	s_mul_u64 s[22:23], s[2:3], 6
	s_mov_b32 s21, s3
	s_lshl_b32 s11, s2, 3
	s_mov_b64 s[24:25], 0
	s_branch .LBB34_4
.LBB34_3:                               ;   in Loop: Header=BB34_4 Depth=1
	s_wait_alu 0xfffe
	s_or_b32 exec_lo, exec_lo, s2
	s_add_nc_u64 s[24:25], s[24:25], s[20:21]
	v_add_co_u32 v1, vcc_lo, v1, s11
	s_wait_alu 0xfffe
	v_cmp_lt_i64_e64 s2, s[24:25], s[16:17]
	s_wait_alu 0xfffd
	v_add_co_ci_u32_e64 v2, null, 0, v2, vcc_lo
	v_add_co_u32 v3, vcc_lo, v3, s11
	s_wait_alu 0xfffd
	v_add_co_ci_u32_e64 v4, null, 0, v4, vcc_lo
	s_and_b32 vcc_lo, exec_lo, s2
	s_wait_alu 0xfffe
	s_cbranch_vccz .LBB34_20
.LBB34_4:                               ; =>This Inner Loop Header: Depth=1
	s_wait_alu 0xfffe
	v_add_co_u32 v12, s2, v0, s24
	s_wait_alu 0xf1ff
	v_add_co_ci_u32_e64 v13, null, 0, s25, s2
	s_delay_alu instid0(VALU_DEP_1)
	v_cmp_gt_u64_e32 vcc_lo, s[18:19], v[12:13]
	v_mov_b32_e32 v12, 0
	s_and_saveexec_b32 s2, vcc_lo
	s_cbranch_execz .LBB34_6
; %bb.5:                                ;   in Loop: Header=BB34_4 Depth=1
	global_load_u16 v12, v[1:2], off
	s_wait_loadcnt 0x0
	v_cvt_f32_f16_e32 v12, v12
.LBB34_6:                               ;   in Loop: Header=BB34_4 Depth=1
	s_wait_alu 0xfffe
	s_or_b32 exec_lo, exec_lo, s2
	v_add_co_u32 v13, s2, v6, s24
	s_wait_alu 0xf1ff
	v_add_co_ci_u32_e64 v14, null, s25, v9, s2
	s_delay_alu instid0(VALU_DEP_1)
	v_cmp_gt_u64_e64 s2, s[18:19], v[13:14]
	v_dual_mov_b32 v13, 0 :: v_dual_mov_b32 v14, 0
	s_and_saveexec_b32 s3, s2
	s_cbranch_execz .LBB34_8
; %bb.7:                                ;   in Loop: Header=BB34_4 Depth=1
	global_load_u16 v14, v[3:4], off
	s_wait_loadcnt 0x0
	v_cvt_f32_f16_e32 v14, v14
.LBB34_8:                               ;   in Loop: Header=BB34_4 Depth=1
	s_wait_alu 0xfffe
	s_or_b32 exec_lo, exec_lo, s3
	v_add_co_u32 v15, s3, v10, s24
	s_wait_alu 0xf1ff
	v_add_co_ci_u32_e64 v16, null, s25, v11, s3
	s_delay_alu instid0(VALU_DEP_1)
	v_cmp_gt_u64_e64 s3, s[18:19], v[15:16]
	s_and_saveexec_b32 s5, s3
	s_cbranch_execz .LBB34_10
; %bb.9:                                ;   in Loop: Header=BB34_4 Depth=1
	v_add_co_u32 v15, s4, v1, s20
	s_wait_alu 0xf1ff
	v_add_co_ci_u32_e64 v16, null, 0, v2, s4
	global_load_u16 v13, v[15:16], off
	s_wait_loadcnt 0x0
	v_cvt_f32_f16_e32 v13, v13
.LBB34_10:                              ;   in Loop: Header=BB34_4 Depth=1
	s_wait_alu 0xfffe
	s_or_b32 exec_lo, exec_lo, s5
	v_add_co_u32 v15, s4, v7, s24
	s_wait_alu 0xf1ff
	v_add_co_ci_u32_e64 v16, null, s25, v8, s4
	s_delay_alu instid0(VALU_DEP_1)
	v_cmp_gt_u64_e64 s4, s[18:19], v[15:16]
	v_mov_b32_e32 v15, 0
	s_and_saveexec_b32 s26, s4
	s_cbranch_execz .LBB34_12
; %bb.11:                               ;   in Loop: Header=BB34_4 Depth=1
	v_add_co_u32 v15, s5, v1, s22
	s_wait_alu 0xf1ff
	v_add_co_ci_u32_e64 v16, null, s23, v2, s5
	global_load_u16 v15, v[15:16], off
	s_wait_loadcnt 0x0
	v_cvt_f32_f16_e32 v15, v15
.LBB34_12:                              ;   in Loop: Header=BB34_4 Depth=1
	s_or_b32 exec_lo, exec_lo, s26
	global_load_u16 v16, v5, s[8:9]
	s_wait_loadcnt 0x0
	v_cvt_f32_f16_e32 v16, v16
	s_delay_alu instid0(VALU_DEP_1)
	v_mul_f32_e32 v16, s10, v16
	s_and_saveexec_b32 s5, vcc_lo
	s_cbranch_execnz .LBB34_16
; %bb.13:                               ;   in Loop: Header=BB34_4 Depth=1
	s_wait_alu 0xfffe
	s_or_b32 exec_lo, exec_lo, s5
	s_and_saveexec_b32 s5, s2
	s_cbranch_execnz .LBB34_17
.LBB34_14:                              ;   in Loop: Header=BB34_4 Depth=1
	s_wait_alu 0xfffe
	s_or_b32 exec_lo, exec_lo, s5
	s_and_saveexec_b32 s2, s3
	s_cbranch_execnz .LBB34_18
.LBB34_15:                              ;   in Loop: Header=BB34_4 Depth=1
	s_wait_alu 0xfffe
	s_or_b32 exec_lo, exec_lo, s2
	s_and_saveexec_b32 s2, s4
	s_cbranch_execz .LBB34_3
	s_branch .LBB34_19
.LBB34_16:                              ;   in Loop: Header=BB34_4 Depth=1
	s_delay_alu instid0(VALU_DEP_1)
	v_fma_mixlo_f16 v12, v12, v16, 0
	global_store_b16 v[1:2], v12, off
	s_wait_alu 0xfffe
	s_or_b32 exec_lo, exec_lo, s5
	s_and_saveexec_b32 s5, s2
	s_cbranch_execz .LBB34_14
.LBB34_17:                              ;   in Loop: Header=BB34_4 Depth=1
	v_fma_mixlo_f16 v12, v14, v16, 0
	global_store_b16 v[3:4], v12, off
	s_wait_alu 0xfffe
	s_or_b32 exec_lo, exec_lo, s5
	s_and_saveexec_b32 s2, s3
	s_cbranch_execz .LBB34_15
.LBB34_18:                              ;   in Loop: Header=BB34_4 Depth=1
	v_add_co_u32 v12, vcc_lo, v1, s20
	v_fma_mixlo_f16 v14, v13, v16, 0
	s_wait_alu 0xfffd
	v_add_co_ci_u32_e64 v13, null, 0, v2, vcc_lo
	global_store_b16 v[12:13], v14, off
	s_wait_alu 0xfffe
	s_or_b32 exec_lo, exec_lo, s2
	s_and_saveexec_b32 s2, s4
	s_cbranch_execz .LBB34_3
.LBB34_19:                              ;   in Loop: Header=BB34_4 Depth=1
	v_add_co_u32 v12, vcc_lo, v1, s22
	v_fma_mixlo_f16 v14, v15, v16, 0
	s_wait_alu 0xfffd
	v_add_co_ci_u32_e64 v13, null, s23, v2, vcc_lo
	global_store_b16 v[12:13], v14, off
	s_branch .LBB34_3
.LBB34_20:
	s_cbranch_execz .LBB34_22
	s_branch .LBB34_25
.LBB34_21:
.LBB34_22:
	v_cmp_gt_i64_e64 s2, 0x10000, s[14:15]
	v_dual_mov_b32 v2, 0 :: v_dual_lshlrev_b32 v1, 2, v0
	s_mov_b32 s4, 0
	s_mov_b32 s5, exec_lo
	s_and_b32 s2, s2, exec_lo
	s_cselect_b32 s3, s15, 0
	s_cselect_b32 s2, s14, 0x10000
	s_wait_alu 0xfffe
	v_cmpx_gt_i64_e64 s[2:3], v[1:2]
	s_cbranch_execz .LBB34_25
; %bb.23:
	s_load_b32 s5, s[0:1], 0xd4c
	v_lshlrev_b32_e32 v1, 3, v0
	s_add_nc_u64 s[0:1], s[6:7], s[12:13]
	s_delay_alu instid0(VALU_DEP_1) | instid1(SALU_CYCLE_1)
	v_add_co_u32 v3, s0, s0, v1
	s_wait_alu 0xf1ff
	v_add_co_ci_u32_e64 v4, null, s1, 0, s0
	v_mov_b32_e32 v1, v2
	s_delay_alu instid0(VALU_DEP_3) | instskip(SKIP_1) | instid1(VALU_DEP_3)
	v_add_co_u32 v3, vcc_lo, v3, 4
	s_wait_alu 0xfffd
	v_add_co_ci_u32_e64 v4, null, 0, v4, vcc_lo
	s_wait_kmcnt 0x0
	s_and_b32 s1, s5, 0xffff
	s_wait_alu 0xfffe
	s_lshl_b32 s5, s1, 3
.LBB34_24:                              ; =>This Inner Loop Header: Depth=1
	global_load_u16 v9, v2, s[8:9]
	global_load_b64 v[5:6], v[3:4], off offset:-4
	v_add_co_u32 v0, vcc_lo, v0, s1
	s_wait_alu 0xfffd
	v_add_co_ci_u32_e64 v1, null, 0, v1, vcc_lo
	s_delay_alu instid0(VALU_DEP_1) | instskip(NEXT) | instid1(VALU_DEP_1)
	v_lshlrev_b64_e32 v[7:8], 2, v[0:1]
	v_cmp_le_i64_e32 vcc_lo, s[2:3], v[7:8]
	s_or_b32 s4, vcc_lo, s4
	s_wait_loadcnt 0x1
	v_cvt_f32_f16_e32 v7, v9
	s_delay_alu instid0(VALU_DEP_1) | instskip(SKIP_1) | instid1(VALU_DEP_1)
	v_mul_f32_e32 v9, s10, v7
	s_wait_loadcnt 0x0
	v_fma_mixlo_f16 v8, v9, v6, 0 op_sel_hi:[0,1,0]
	v_fma_mixlo_f16 v7, v9, v5, 0 op_sel_hi:[0,1,0]
	s_delay_alu instid0(VALU_DEP_2) | instskip(NEXT) | instid1(VALU_DEP_2)
	v_fma_mixhi_f16 v8, v9, v6, 0 op_sel:[0,1,0] op_sel_hi:[0,1,0]
	v_fma_mixhi_f16 v7, v9, v5, 0 op_sel:[0,1,0] op_sel_hi:[0,1,0]
	global_store_b64 v[3:4], v[7:8], off offset:-4
	s_wait_alu 0xfffe
	v_add_co_u32 v3, s0, v3, s5
	s_wait_alu 0xf1ff
	v_add_co_ci_u32_e64 v4, null, 0, v4, s0
	s_and_not1_b32 exec_lo, exec_lo, s4
	s_cbranch_execnz .LBB34_24
.LBB34_25:
	s_endpgm
	.section	.rodata,"a",@progbits
	.p2align	6, 0x0
	.amdhsa_kernel _ZN2at6native12_GLOBAL__N_125multi_tensor_apply_kernelINS1_18TensorListMetadataILi1EEENS1_27BinaryOpScalarTensorFunctorIN3c104HalfELi1ELi1ELi0EEEJSt10multipliesIfEPS7_fEEEvT_T0_DpT1_
		.amdhsa_group_segment_fixed_size 0
		.amdhsa_private_segment_fixed_size 0
		.amdhsa_kernarg_size 3648
		.amdhsa_user_sgpr_count 2
		.amdhsa_user_sgpr_dispatch_ptr 0
		.amdhsa_user_sgpr_queue_ptr 0
		.amdhsa_user_sgpr_kernarg_segment_ptr 1
		.amdhsa_user_sgpr_dispatch_id 0
		.amdhsa_user_sgpr_private_segment_size 0
		.amdhsa_wavefront_size32 1
		.amdhsa_uses_dynamic_stack 0
		.amdhsa_enable_private_segment 0
		.amdhsa_system_sgpr_workgroup_id_x 1
		.amdhsa_system_sgpr_workgroup_id_y 0
		.amdhsa_system_sgpr_workgroup_id_z 0
		.amdhsa_system_sgpr_workgroup_info 0
		.amdhsa_system_vgpr_workitem_id 0
		.amdhsa_next_free_vgpr 17
		.amdhsa_next_free_sgpr 27
		.amdhsa_reserve_vcc 1
		.amdhsa_float_round_mode_32 0
		.amdhsa_float_round_mode_16_64 0
		.amdhsa_float_denorm_mode_32 3
		.amdhsa_float_denorm_mode_16_64 3
		.amdhsa_fp16_overflow 0
		.amdhsa_workgroup_processor_mode 1
		.amdhsa_memory_ordered 1
		.amdhsa_forward_progress 1
		.amdhsa_inst_pref_size 11
		.amdhsa_round_robin_scheduling 0
		.amdhsa_exception_fp_ieee_invalid_op 0
		.amdhsa_exception_fp_denorm_src 0
		.amdhsa_exception_fp_ieee_div_zero 0
		.amdhsa_exception_fp_ieee_overflow 0
		.amdhsa_exception_fp_ieee_underflow 0
		.amdhsa_exception_fp_ieee_inexact 0
		.amdhsa_exception_int_div_zero 0
	.end_amdhsa_kernel
	.section	.text._ZN2at6native12_GLOBAL__N_125multi_tensor_apply_kernelINS1_18TensorListMetadataILi1EEENS1_27BinaryOpScalarTensorFunctorIN3c104HalfELi1ELi1ELi0EEEJSt10multipliesIfEPS7_fEEEvT_T0_DpT1_,"axG",@progbits,_ZN2at6native12_GLOBAL__N_125multi_tensor_apply_kernelINS1_18TensorListMetadataILi1EEENS1_27BinaryOpScalarTensorFunctorIN3c104HalfELi1ELi1ELi0EEEJSt10multipliesIfEPS7_fEEEvT_T0_DpT1_,comdat
.Lfunc_end34:
	.size	_ZN2at6native12_GLOBAL__N_125multi_tensor_apply_kernelINS1_18TensorListMetadataILi1EEENS1_27BinaryOpScalarTensorFunctorIN3c104HalfELi1ELi1ELi0EEEJSt10multipliesIfEPS7_fEEEvT_T0_DpT1_, .Lfunc_end34-_ZN2at6native12_GLOBAL__N_125multi_tensor_apply_kernelINS1_18TensorListMetadataILi1EEENS1_27BinaryOpScalarTensorFunctorIN3c104HalfELi1ELi1ELi0EEEJSt10multipliesIfEPS7_fEEEvT_T0_DpT1_
                                        ; -- End function
	.set _ZN2at6native12_GLOBAL__N_125multi_tensor_apply_kernelINS1_18TensorListMetadataILi1EEENS1_27BinaryOpScalarTensorFunctorIN3c104HalfELi1ELi1ELi0EEEJSt10multipliesIfEPS7_fEEEvT_T0_DpT1_.num_vgpr, 17
	.set _ZN2at6native12_GLOBAL__N_125multi_tensor_apply_kernelINS1_18TensorListMetadataILi1EEENS1_27BinaryOpScalarTensorFunctorIN3c104HalfELi1ELi1ELi0EEEJSt10multipliesIfEPS7_fEEEvT_T0_DpT1_.num_agpr, 0
	.set _ZN2at6native12_GLOBAL__N_125multi_tensor_apply_kernelINS1_18TensorListMetadataILi1EEENS1_27BinaryOpScalarTensorFunctorIN3c104HalfELi1ELi1ELi0EEEJSt10multipliesIfEPS7_fEEEvT_T0_DpT1_.numbered_sgpr, 27
	.set _ZN2at6native12_GLOBAL__N_125multi_tensor_apply_kernelINS1_18TensorListMetadataILi1EEENS1_27BinaryOpScalarTensorFunctorIN3c104HalfELi1ELi1ELi0EEEJSt10multipliesIfEPS7_fEEEvT_T0_DpT1_.num_named_barrier, 0
	.set _ZN2at6native12_GLOBAL__N_125multi_tensor_apply_kernelINS1_18TensorListMetadataILi1EEENS1_27BinaryOpScalarTensorFunctorIN3c104HalfELi1ELi1ELi0EEEJSt10multipliesIfEPS7_fEEEvT_T0_DpT1_.private_seg_size, 0
	.set _ZN2at6native12_GLOBAL__N_125multi_tensor_apply_kernelINS1_18TensorListMetadataILi1EEENS1_27BinaryOpScalarTensorFunctorIN3c104HalfELi1ELi1ELi0EEEJSt10multipliesIfEPS7_fEEEvT_T0_DpT1_.uses_vcc, 1
	.set _ZN2at6native12_GLOBAL__N_125multi_tensor_apply_kernelINS1_18TensorListMetadataILi1EEENS1_27BinaryOpScalarTensorFunctorIN3c104HalfELi1ELi1ELi0EEEJSt10multipliesIfEPS7_fEEEvT_T0_DpT1_.uses_flat_scratch, 0
	.set _ZN2at6native12_GLOBAL__N_125multi_tensor_apply_kernelINS1_18TensorListMetadataILi1EEENS1_27BinaryOpScalarTensorFunctorIN3c104HalfELi1ELi1ELi0EEEJSt10multipliesIfEPS7_fEEEvT_T0_DpT1_.has_dyn_sized_stack, 0
	.set _ZN2at6native12_GLOBAL__N_125multi_tensor_apply_kernelINS1_18TensorListMetadataILi1EEENS1_27BinaryOpScalarTensorFunctorIN3c104HalfELi1ELi1ELi0EEEJSt10multipliesIfEPS7_fEEEvT_T0_DpT1_.has_recursion, 0
	.set _ZN2at6native12_GLOBAL__N_125multi_tensor_apply_kernelINS1_18TensorListMetadataILi1EEENS1_27BinaryOpScalarTensorFunctorIN3c104HalfELi1ELi1ELi0EEEJSt10multipliesIfEPS7_fEEEvT_T0_DpT1_.has_indirect_call, 0
	.section	.AMDGPU.csdata,"",@progbits
; Kernel info:
; codeLenInByte = 1344
; TotalNumSgprs: 29
; NumVgprs: 17
; ScratchSize: 0
; MemoryBound: 0
; FloatMode: 240
; IeeeMode: 1
; LDSByteSize: 0 bytes/workgroup (compile time only)
; SGPRBlocks: 0
; VGPRBlocks: 2
; NumSGPRsForWavesPerEU: 29
; NumVGPRsForWavesPerEU: 17
; Occupancy: 16
; WaveLimiterHint : 0
; COMPUTE_PGM_RSRC2:SCRATCH_EN: 0
; COMPUTE_PGM_RSRC2:USER_SGPR: 2
; COMPUTE_PGM_RSRC2:TRAP_HANDLER: 0
; COMPUTE_PGM_RSRC2:TGID_X_EN: 1
; COMPUTE_PGM_RSRC2:TGID_Y_EN: 0
; COMPUTE_PGM_RSRC2:TGID_Z_EN: 0
; COMPUTE_PGM_RSRC2:TIDIG_COMP_CNT: 0
	.section	.text._ZN2at6native12_GLOBAL__N_125multi_tensor_apply_kernelINS1_18TensorListMetadataILi1EEENS1_27BinaryOpScalarTensorFunctorIN3c108BFloat16ELi1ELi1ELi0EEEJSt10multipliesIfEPS7_fEEEvT_T0_DpT1_,"axG",@progbits,_ZN2at6native12_GLOBAL__N_125multi_tensor_apply_kernelINS1_18TensorListMetadataILi1EEENS1_27BinaryOpScalarTensorFunctorIN3c108BFloat16ELi1ELi1ELi0EEEJSt10multipliesIfEPS7_fEEEvT_T0_DpT1_,comdat
	.globl	_ZN2at6native12_GLOBAL__N_125multi_tensor_apply_kernelINS1_18TensorListMetadataILi1EEENS1_27BinaryOpScalarTensorFunctorIN3c108BFloat16ELi1ELi1ELi0EEEJSt10multipliesIfEPS7_fEEEvT_T0_DpT1_ ; -- Begin function _ZN2at6native12_GLOBAL__N_125multi_tensor_apply_kernelINS1_18TensorListMetadataILi1EEENS1_27BinaryOpScalarTensorFunctorIN3c108BFloat16ELi1ELi1ELi0EEEJSt10multipliesIfEPS7_fEEEvT_T0_DpT1_
	.p2align	8
	.type	_ZN2at6native12_GLOBAL__N_125multi_tensor_apply_kernelINS1_18TensorListMetadataILi1EEENS1_27BinaryOpScalarTensorFunctorIN3c108BFloat16ELi1ELi1ELi0EEEJSt10multipliesIfEPS7_fEEEvT_T0_DpT1_,@function
_ZN2at6native12_GLOBAL__N_125multi_tensor_apply_kernelINS1_18TensorListMetadataILi1EEENS1_27BinaryOpScalarTensorFunctorIN3c108BFloat16ELi1ELi1ELi0EEEJSt10multipliesIfEPS7_fEEEvT_T0_DpT1_: ; @_ZN2at6native12_GLOBAL__N_125multi_tensor_apply_kernelINS1_18TensorListMetadataILi1EEENS1_27BinaryOpScalarTensorFunctorIN3c108BFloat16ELi1ELi1ELi0EEEJSt10multipliesIfEPS7_fEEEvT_T0_DpT1_
; %bb.0:
	s_mov_b32 s2, ttmp9
	s_mov_b32 s3, 0
	s_delay_alu instid0(SALU_CYCLE_1)
	s_mul_u64 s[4:5], s[2:3], 3
	s_add_nc_u64 s[6:7], s[0:1], s[2:3]
	s_mov_b32 s17, s3
	s_add_nc_u64 s[4:5], s[6:7], s[4:5]
	s_clause 0x1
	s_load_b32 s4, s[4:5], 0x820
	s_load_u8 s2, s[0:1], ttmp9 offset:0x6e0
	s_wait_kmcnt 0x0
	s_ashr_i32 s5, s4, 31
	s_lshl_b32 s2, s2, 3
	s_clause 0x2
	s_load_b64 s[6:7], s[0:1], s2 offset:0x0
	s_load_b64 s[14:15], s[0:1], s2 offset:0x370
	s_load_b96 s[8:10], s[0:1], 0xd30
	s_lshl_b64 s[12:13], s[4:5], 17
	s_lshl_b64 s[4:5], s[4:5], 16
	s_wait_kmcnt 0x0
	s_and_b32 s2, s6, 7
	s_and_b32 s16, s14, 3
	s_sub_nc_u64 s[14:15], s[14:15], s[4:5]
	s_or_b64 s[2:3], s[2:3], s[16:17]
	s_delay_alu instid0(SALU_CYCLE_1)
	s_cmp_eq_u64 s[2:3], 0
	s_cbranch_scc1 .LBB35_21
; %bb.1:
	v_cmp_lt_i64_e64 s2, s[14:15], 1
	s_and_b32 vcc_lo, exec_lo, s2
	s_cbranch_vccnz .LBB35_20
; %bb.2:
	s_load_b32 s2, s[0:1], 0xd4c
	v_cmp_gt_i64_e64 s11, 0x10000, s[14:15]
	v_lshlrev_b32_e32 v1, 1, v0
	s_add_nc_u64 s[4:5], s[6:7], s[12:13]
	v_cmp_gt_u64_e64 s18, 0x10000, s[14:15]
	v_mov_b32_e32 v5, 0
	s_mov_b32 s3, 0
	v_add_co_u32 v1, s16, s4, v1
	s_and_b32 s11, s11, exec_lo
	v_add_co_ci_u32_e64 v2, null, s5, 0, s16
	s_cselect_b32 s17, s15, 0
	s_cselect_b32 s16, s14, 0x10000
	s_wait_kmcnt 0x0
	s_and_b32 s2, s2, 0xffff
	s_and_b32 s11, s18, exec_lo
	v_add_co_u32 v6, s24, v0, s2
	s_cselect_b32 s19, s15, 0
	s_cselect_b32 s18, s14, 0x10000
	s_lshl_b32 s11, s2, 1
	v_lshlrev_b32_e32 v3, 1, v6
	s_mul_i32 s21, s2, 3
	v_add_co_u32 v10, s11, s11, v0
	v_add_co_u32 v7, s21, s21, v0
	s_delay_alu instid0(VALU_DEP_3)
	v_add_co_u32 v3, s4, s4, v3
	s_wait_alu 0xf1ff
	v_add_co_ci_u32_e64 v8, null, 0, 0, s21
	v_add_co_ci_u32_e64 v9, null, 0, 0, s24
	;; [unrolled: 1-line block ×4, first 2 shown]
	s_lshl_b32 s20, s2, 2
	s_mul_u64 s[22:23], s[2:3], 6
	s_mov_b32 s21, s3
	s_lshl_b32 s11, s2, 3
	s_mov_b64 s[24:25], 0
	s_branch .LBB35_4
.LBB35_3:                               ;   in Loop: Header=BB35_4 Depth=1
	s_wait_alu 0xfffe
	s_or_b32 exec_lo, exec_lo, s2
	s_add_nc_u64 s[24:25], s[24:25], s[20:21]
	v_add_co_u32 v1, vcc_lo, v1, s11
	s_wait_alu 0xfffe
	v_cmp_lt_i64_e64 s2, s[24:25], s[16:17]
	s_wait_alu 0xfffd
	v_add_co_ci_u32_e64 v2, null, 0, v2, vcc_lo
	v_add_co_u32 v3, vcc_lo, v3, s11
	s_wait_alu 0xfffd
	v_add_co_ci_u32_e64 v4, null, 0, v4, vcc_lo
	s_and_b32 vcc_lo, exec_lo, s2
	s_wait_alu 0xfffe
	s_cbranch_vccz .LBB35_20
.LBB35_4:                               ; =>This Inner Loop Header: Depth=1
	s_wait_alu 0xfffe
	v_add_co_u32 v12, s2, v0, s24
	s_wait_alu 0xf1ff
	v_add_co_ci_u32_e64 v13, null, 0, s25, s2
	s_delay_alu instid0(VALU_DEP_1)
	v_cmp_gt_u64_e32 vcc_lo, s[18:19], v[12:13]
	v_mov_b32_e32 v13, 0
	s_and_saveexec_b32 s2, vcc_lo
	s_cbranch_execz .LBB35_6
; %bb.5:                                ;   in Loop: Header=BB35_4 Depth=1
	global_load_u16 v12, v[1:2], off
	s_wait_loadcnt 0x0
	v_lshlrev_b32_e32 v13, 16, v12
.LBB35_6:                               ;   in Loop: Header=BB35_4 Depth=1
	s_wait_alu 0xfffe
	s_or_b32 exec_lo, exec_lo, s2
	v_add_co_u32 v14, s2, v6, s24
	s_wait_alu 0xf1ff
	v_add_co_ci_u32_e64 v15, null, s25, v9, s2
	v_mov_b32_e32 v12, 0
	s_delay_alu instid0(VALU_DEP_2)
	v_cmp_gt_u64_e64 s2, s[18:19], v[14:15]
	v_mov_b32_e32 v14, 0
	s_and_saveexec_b32 s3, s2
	s_cbranch_execz .LBB35_8
; %bb.7:                                ;   in Loop: Header=BB35_4 Depth=1
	global_load_u16 v14, v[3:4], off
	s_wait_loadcnt 0x0
	v_lshlrev_b32_e32 v14, 16, v14
.LBB35_8:                               ;   in Loop: Header=BB35_4 Depth=1
	s_wait_alu 0xfffe
	s_or_b32 exec_lo, exec_lo, s3
	v_add_co_u32 v15, s3, v10, s24
	s_wait_alu 0xf1ff
	v_add_co_ci_u32_e64 v16, null, s25, v11, s3
	s_delay_alu instid0(VALU_DEP_1)
	v_cmp_gt_u64_e64 s3, s[18:19], v[15:16]
	s_and_saveexec_b32 s5, s3
	s_cbranch_execz .LBB35_10
; %bb.9:                                ;   in Loop: Header=BB35_4 Depth=1
	v_add_co_u32 v15, s4, v1, s20
	s_wait_alu 0xf1ff
	v_add_co_ci_u32_e64 v16, null, 0, v2, s4
	global_load_u16 v12, v[15:16], off
	s_wait_loadcnt 0x0
	v_lshlrev_b32_e32 v12, 16, v12
.LBB35_10:                              ;   in Loop: Header=BB35_4 Depth=1
	s_wait_alu 0xfffe
	s_or_b32 exec_lo, exec_lo, s5
	v_add_co_u32 v15, s4, v7, s24
	s_wait_alu 0xf1ff
	v_add_co_ci_u32_e64 v16, null, s25, v8, s4
	s_delay_alu instid0(VALU_DEP_1)
	v_cmp_gt_u64_e64 s4, s[18:19], v[15:16]
	v_mov_b32_e32 v15, 0
	s_and_saveexec_b32 s26, s4
	s_cbranch_execz .LBB35_12
; %bb.11:                               ;   in Loop: Header=BB35_4 Depth=1
	v_add_co_u32 v15, s5, v1, s22
	s_wait_alu 0xf1ff
	v_add_co_ci_u32_e64 v16, null, s23, v2, s5
	global_load_u16 v15, v[15:16], off
	s_wait_loadcnt 0x0
	v_lshlrev_b32_e32 v15, 16, v15
.LBB35_12:                              ;   in Loop: Header=BB35_4 Depth=1
	s_or_b32 exec_lo, exec_lo, s26
	global_load_u16 v16, v5, s[8:9]
	s_wait_loadcnt 0x0
	v_lshlrev_b32_e32 v16, 16, v16
	s_delay_alu instid0(VALU_DEP_1)
	v_mul_f32_e32 v16, s10, v16
	s_and_saveexec_b32 s5, vcc_lo
	s_cbranch_execnz .LBB35_16
; %bb.13:                               ;   in Loop: Header=BB35_4 Depth=1
	s_wait_alu 0xfffe
	s_or_b32 exec_lo, exec_lo, s5
	s_and_saveexec_b32 s5, s2
	s_cbranch_execnz .LBB35_17
.LBB35_14:                              ;   in Loop: Header=BB35_4 Depth=1
	s_wait_alu 0xfffe
	s_or_b32 exec_lo, exec_lo, s5
	s_and_saveexec_b32 s2, s3
	s_cbranch_execnz .LBB35_18
.LBB35_15:                              ;   in Loop: Header=BB35_4 Depth=1
	s_wait_alu 0xfffe
	s_or_b32 exec_lo, exec_lo, s2
	s_and_saveexec_b32 s2, s4
	s_cbranch_execz .LBB35_3
	s_branch .LBB35_19
.LBB35_16:                              ;   in Loop: Header=BB35_4 Depth=1
	s_delay_alu instid0(VALU_DEP_1) | instskip(NEXT) | instid1(VALU_DEP_1)
	v_mul_f32_e32 v13, v13, v16
	v_bfe_u32 v17, v13, 16, 1
	v_cmp_o_f32_e32 vcc_lo, v13, v13
	s_delay_alu instid0(VALU_DEP_2) | instskip(NEXT) | instid1(VALU_DEP_1)
	v_add3_u32 v17, v13, v17, 0x7fff
	v_lshrrev_b32_e32 v17, 16, v17
	s_wait_alu 0xfffd
	s_delay_alu instid0(VALU_DEP_1)
	v_cndmask_b32_e32 v13, 0x7fc0, v17, vcc_lo
	global_store_b16 v[1:2], v13, off
	s_wait_alu 0xfffe
	s_or_b32 exec_lo, exec_lo, s5
	s_and_saveexec_b32 s5, s2
	s_cbranch_execz .LBB35_14
.LBB35_17:                              ;   in Loop: Header=BB35_4 Depth=1
	v_mul_f32_e32 v13, v14, v16
	s_delay_alu instid0(VALU_DEP_1) | instskip(SKIP_1) | instid1(VALU_DEP_2)
	v_bfe_u32 v14, v13, 16, 1
	v_cmp_o_f32_e32 vcc_lo, v13, v13
	v_add3_u32 v14, v13, v14, 0x7fff
	s_delay_alu instid0(VALU_DEP_1) | instskip(SKIP_1) | instid1(VALU_DEP_1)
	v_lshrrev_b32_e32 v14, 16, v14
	s_wait_alu 0xfffd
	v_cndmask_b32_e32 v13, 0x7fc0, v14, vcc_lo
	global_store_b16 v[3:4], v13, off
	s_wait_alu 0xfffe
	s_or_b32 exec_lo, exec_lo, s5
	s_and_saveexec_b32 s2, s3
	s_cbranch_execz .LBB35_15
.LBB35_18:                              ;   in Loop: Header=BB35_4 Depth=1
	v_mul_f32_e32 v12, v12, v16
	s_delay_alu instid0(VALU_DEP_1) | instskip(SKIP_1) | instid1(VALU_DEP_2)
	v_bfe_u32 v13, v12, 16, 1
	v_cmp_o_f32_e32 vcc_lo, v12, v12
	v_add3_u32 v13, v12, v13, 0x7fff
	s_delay_alu instid0(VALU_DEP_1) | instskip(SKIP_1) | instid1(VALU_DEP_1)
	v_lshrrev_b32_e32 v13, 16, v13
	s_wait_alu 0xfffd
	v_cndmask_b32_e32 v14, 0x7fc0, v13, vcc_lo
	v_add_co_u32 v12, vcc_lo, v1, s20
	s_wait_alu 0xfffd
	v_add_co_ci_u32_e64 v13, null, 0, v2, vcc_lo
	global_store_b16 v[12:13], v14, off
	s_wait_alu 0xfffe
	s_or_b32 exec_lo, exec_lo, s2
	s_and_saveexec_b32 s2, s4
	s_cbranch_execz .LBB35_3
.LBB35_19:                              ;   in Loop: Header=BB35_4 Depth=1
	v_mul_f32_e32 v12, v15, v16
	s_delay_alu instid0(VALU_DEP_1) | instskip(SKIP_1) | instid1(VALU_DEP_2)
	v_bfe_u32 v13, v12, 16, 1
	v_cmp_o_f32_e32 vcc_lo, v12, v12
	v_add3_u32 v13, v12, v13, 0x7fff
	s_delay_alu instid0(VALU_DEP_1) | instskip(SKIP_1) | instid1(VALU_DEP_1)
	v_lshrrev_b32_e32 v13, 16, v13
	s_wait_alu 0xfffd
	v_cndmask_b32_e32 v14, 0x7fc0, v13, vcc_lo
	v_add_co_u32 v12, vcc_lo, v1, s22
	s_wait_alu 0xfffd
	v_add_co_ci_u32_e64 v13, null, s23, v2, vcc_lo
	global_store_b16 v[12:13], v14, off
	s_branch .LBB35_3
.LBB35_20:
	s_cbranch_execz .LBB35_22
	s_branch .LBB35_25
.LBB35_21:
.LBB35_22:
	v_cmp_gt_i64_e64 s2, 0x10000, s[14:15]
	v_dual_mov_b32 v2, 0 :: v_dual_lshlrev_b32 v1, 2, v0
	s_mov_b32 s11, 0
	s_and_b32 s2, s2, exec_lo
	s_cselect_b32 s5, s15, 0
	s_cselect_b32 s4, s14, 0x10000
	s_mov_b32 s2, exec_lo
	s_wait_alu 0xfffe
	v_cmpx_gt_i64_e64 s[4:5], v[1:2]
	s_cbranch_execz .LBB35_25
; %bb.23:
	s_load_b32 s2, s[0:1], 0xd4c
	v_lshlrev_b32_e32 v3, 3, v0
	s_add_nc_u64 s[0:1], s[6:7], s[12:13]
	v_mov_b32_e32 v1, v2
	s_delay_alu instid0(VALU_DEP_2) | instskip(SKIP_4) | instid1(SALU_CYCLE_1)
	v_add_co_u32 v3, s0, s0, v3
	s_wait_alu 0xf1ff
	v_add_co_ci_u32_e64 v4, null, s1, 0, s0
	s_wait_kmcnt 0x0
	s_and_b32 s6, s2, 0xffff
	s_lshl_b32 s7, s6, 3
.LBB35_24:                              ; =>This Inner Loop Header: Depth=1
	global_load_u16 v9, v2, s[8:9]
	global_load_b64 v[5:6], v[3:4], off
	v_add_co_u32 v0, vcc_lo, v0, s6
	s_wait_alu 0xfffd
	v_add_co_ci_u32_e64 v1, null, 0, v1, vcc_lo
	s_delay_alu instid0(VALU_DEP_1) | instskip(NEXT) | instid1(VALU_DEP_1)
	v_lshlrev_b64_e32 v[7:8], 2, v[0:1]
	v_cmp_le_i64_e32 vcc_lo, s[4:5], v[7:8]
	s_or_b32 s11, vcc_lo, s11
	s_wait_loadcnt 0x1
	v_lshlrev_b32_e32 v7, 16, v9
	s_wait_loadcnt 0x0
	v_and_b32_e32 v8, 0xffff0000, v5
	v_alignbit_b32 v9, v6, v5, 16
	s_delay_alu instid0(VALU_DEP_3) | instskip(NEXT) | instid1(VALU_DEP_1)
	v_mul_f32_e32 v7, s10, v7
	v_dual_mul_f32 v8, v7, v8 :: v_dual_lshlrev_b32 v5, 16, v5
	s_delay_alu instid0(VALU_DEP_1) | instskip(NEXT) | instid1(VALU_DEP_4)
	v_dual_mul_f32 v5, v7, v5 :: v_dual_and_b32 v6, 0xffff0000, v6
	v_and_b32_e32 v9, 0xffff0000, v9
	s_delay_alu instid0(VALU_DEP_3) | instskip(NEXT) | instid1(VALU_DEP_3)
	v_bfe_u32 v10, v8, 16, 1
	v_mul_f32_e32 v6, v7, v6
	s_delay_alu instid0(VALU_DEP_4) | instskip(SKIP_1) | instid1(VALU_DEP_4)
	v_cmp_o_f32_e64 s2, v5, v5
	v_cmp_o_f32_e64 s3, v8, v8
	v_add3_u32 v10, v8, v10, 0x7fff
	v_mul_f32_e32 v9, v7, v9
	v_bfe_u32 v7, v5, 16, 1
	v_bfe_u32 v12, v6, 16, 1
	v_cmp_o_f32_e64 s0, v6, v6
	v_and_b32_e32 v10, 0xffff0000, v10
	v_bfe_u32 v11, v9, 16, 1
	v_add3_u32 v7, v5, v7, 0x7fff
	v_add3_u32 v12, v6, v12, 0x7fff
	v_cmp_o_f32_e64 s1, v9, v9
	s_wait_alu 0xf1ff
	v_cndmask_b32_e64 v5, 0x7fc00000, v10, s3
	v_add3_u32 v11, v9, v11, 0x7fff
	v_lshrrev_b32_e32 v7, 16, v7
	v_and_b32_e32 v12, 0xffff0000, v12
	s_delay_alu instid0(VALU_DEP_3) | instskip(NEXT) | instid1(VALU_DEP_3)
	v_lshrrev_b32_e32 v11, 16, v11
	v_cndmask_b32_e64 v6, 0x7fc0, v7, s2
	s_delay_alu instid0(VALU_DEP_3) | instskip(NEXT) | instid1(VALU_DEP_3)
	v_cndmask_b32_e64 v7, 0x7fc00000, v12, s0
	v_cndmask_b32_e64 v8, 0x7fc0, v11, s1
	s_delay_alu instid0(VALU_DEP_3) | instskip(NEXT) | instid1(VALU_DEP_2)
	v_or_b32_e32 v5, v6, v5
	v_or3_b32 v6, 0, v8, v7
	s_delay_alu instid0(VALU_DEP_2)
	v_or3_b32 v5, v5, 0, 0
	global_store_b64 v[3:4], v[5:6], off
	v_add_co_u32 v3, s0, v3, s7
	s_wait_alu 0xf1ff
	v_add_co_ci_u32_e64 v4, null, 0, v4, s0
	s_wait_alu 0xfffe
	s_and_not1_b32 exec_lo, exec_lo, s11
	s_cbranch_execnz .LBB35_24
.LBB35_25:
	s_endpgm
	.section	.rodata,"a",@progbits
	.p2align	6, 0x0
	.amdhsa_kernel _ZN2at6native12_GLOBAL__N_125multi_tensor_apply_kernelINS1_18TensorListMetadataILi1EEENS1_27BinaryOpScalarTensorFunctorIN3c108BFloat16ELi1ELi1ELi0EEEJSt10multipliesIfEPS7_fEEEvT_T0_DpT1_
		.amdhsa_group_segment_fixed_size 0
		.amdhsa_private_segment_fixed_size 0
		.amdhsa_kernarg_size 3648
		.amdhsa_user_sgpr_count 2
		.amdhsa_user_sgpr_dispatch_ptr 0
		.amdhsa_user_sgpr_queue_ptr 0
		.amdhsa_user_sgpr_kernarg_segment_ptr 1
		.amdhsa_user_sgpr_dispatch_id 0
		.amdhsa_user_sgpr_private_segment_size 0
		.amdhsa_wavefront_size32 1
		.amdhsa_uses_dynamic_stack 0
		.amdhsa_enable_private_segment 0
		.amdhsa_system_sgpr_workgroup_id_x 1
		.amdhsa_system_sgpr_workgroup_id_y 0
		.amdhsa_system_sgpr_workgroup_id_z 0
		.amdhsa_system_sgpr_workgroup_info 0
		.amdhsa_system_vgpr_workitem_id 0
		.amdhsa_next_free_vgpr 18
		.amdhsa_next_free_sgpr 27
		.amdhsa_reserve_vcc 1
		.amdhsa_float_round_mode_32 0
		.amdhsa_float_round_mode_16_64 0
		.amdhsa_float_denorm_mode_32 3
		.amdhsa_float_denorm_mode_16_64 3
		.amdhsa_fp16_overflow 0
		.amdhsa_workgroup_processor_mode 1
		.amdhsa_memory_ordered 1
		.amdhsa_forward_progress 1
		.amdhsa_inst_pref_size 14
		.amdhsa_round_robin_scheduling 0
		.amdhsa_exception_fp_ieee_invalid_op 0
		.amdhsa_exception_fp_denorm_src 0
		.amdhsa_exception_fp_ieee_div_zero 0
		.amdhsa_exception_fp_ieee_overflow 0
		.amdhsa_exception_fp_ieee_underflow 0
		.amdhsa_exception_fp_ieee_inexact 0
		.amdhsa_exception_int_div_zero 0
	.end_amdhsa_kernel
	.section	.text._ZN2at6native12_GLOBAL__N_125multi_tensor_apply_kernelINS1_18TensorListMetadataILi1EEENS1_27BinaryOpScalarTensorFunctorIN3c108BFloat16ELi1ELi1ELi0EEEJSt10multipliesIfEPS7_fEEEvT_T0_DpT1_,"axG",@progbits,_ZN2at6native12_GLOBAL__N_125multi_tensor_apply_kernelINS1_18TensorListMetadataILi1EEENS1_27BinaryOpScalarTensorFunctorIN3c108BFloat16ELi1ELi1ELi0EEEJSt10multipliesIfEPS7_fEEEvT_T0_DpT1_,comdat
.Lfunc_end35:
	.size	_ZN2at6native12_GLOBAL__N_125multi_tensor_apply_kernelINS1_18TensorListMetadataILi1EEENS1_27BinaryOpScalarTensorFunctorIN3c108BFloat16ELi1ELi1ELi0EEEJSt10multipliesIfEPS7_fEEEvT_T0_DpT1_, .Lfunc_end35-_ZN2at6native12_GLOBAL__N_125multi_tensor_apply_kernelINS1_18TensorListMetadataILi1EEENS1_27BinaryOpScalarTensorFunctorIN3c108BFloat16ELi1ELi1ELi0EEEJSt10multipliesIfEPS7_fEEEvT_T0_DpT1_
                                        ; -- End function
	.set _ZN2at6native12_GLOBAL__N_125multi_tensor_apply_kernelINS1_18TensorListMetadataILi1EEENS1_27BinaryOpScalarTensorFunctorIN3c108BFloat16ELi1ELi1ELi0EEEJSt10multipliesIfEPS7_fEEEvT_T0_DpT1_.num_vgpr, 18
	.set _ZN2at6native12_GLOBAL__N_125multi_tensor_apply_kernelINS1_18TensorListMetadataILi1EEENS1_27BinaryOpScalarTensorFunctorIN3c108BFloat16ELi1ELi1ELi0EEEJSt10multipliesIfEPS7_fEEEvT_T0_DpT1_.num_agpr, 0
	.set _ZN2at6native12_GLOBAL__N_125multi_tensor_apply_kernelINS1_18TensorListMetadataILi1EEENS1_27BinaryOpScalarTensorFunctorIN3c108BFloat16ELi1ELi1ELi0EEEJSt10multipliesIfEPS7_fEEEvT_T0_DpT1_.numbered_sgpr, 27
	.set _ZN2at6native12_GLOBAL__N_125multi_tensor_apply_kernelINS1_18TensorListMetadataILi1EEENS1_27BinaryOpScalarTensorFunctorIN3c108BFloat16ELi1ELi1ELi0EEEJSt10multipliesIfEPS7_fEEEvT_T0_DpT1_.num_named_barrier, 0
	.set _ZN2at6native12_GLOBAL__N_125multi_tensor_apply_kernelINS1_18TensorListMetadataILi1EEENS1_27BinaryOpScalarTensorFunctorIN3c108BFloat16ELi1ELi1ELi0EEEJSt10multipliesIfEPS7_fEEEvT_T0_DpT1_.private_seg_size, 0
	.set _ZN2at6native12_GLOBAL__N_125multi_tensor_apply_kernelINS1_18TensorListMetadataILi1EEENS1_27BinaryOpScalarTensorFunctorIN3c108BFloat16ELi1ELi1ELi0EEEJSt10multipliesIfEPS7_fEEEvT_T0_DpT1_.uses_vcc, 1
	.set _ZN2at6native12_GLOBAL__N_125multi_tensor_apply_kernelINS1_18TensorListMetadataILi1EEENS1_27BinaryOpScalarTensorFunctorIN3c108BFloat16ELi1ELi1ELi0EEEJSt10multipliesIfEPS7_fEEEvT_T0_DpT1_.uses_flat_scratch, 0
	.set _ZN2at6native12_GLOBAL__N_125multi_tensor_apply_kernelINS1_18TensorListMetadataILi1EEENS1_27BinaryOpScalarTensorFunctorIN3c108BFloat16ELi1ELi1ELi0EEEJSt10multipliesIfEPS7_fEEEvT_T0_DpT1_.has_dyn_sized_stack, 0
	.set _ZN2at6native12_GLOBAL__N_125multi_tensor_apply_kernelINS1_18TensorListMetadataILi1EEENS1_27BinaryOpScalarTensorFunctorIN3c108BFloat16ELi1ELi1ELi0EEEJSt10multipliesIfEPS7_fEEEvT_T0_DpT1_.has_recursion, 0
	.set _ZN2at6native12_GLOBAL__N_125multi_tensor_apply_kernelINS1_18TensorListMetadataILi1EEENS1_27BinaryOpScalarTensorFunctorIN3c108BFloat16ELi1ELi1ELi0EEEJSt10multipliesIfEPS7_fEEEvT_T0_DpT1_.has_indirect_call, 0
	.section	.AMDGPU.csdata,"",@progbits
; Kernel info:
; codeLenInByte = 1744
; TotalNumSgprs: 29
; NumVgprs: 18
; ScratchSize: 0
; MemoryBound: 0
; FloatMode: 240
; IeeeMode: 1
; LDSByteSize: 0 bytes/workgroup (compile time only)
; SGPRBlocks: 0
; VGPRBlocks: 2
; NumSGPRsForWavesPerEU: 29
; NumVGPRsForWavesPerEU: 18
; Occupancy: 16
; WaveLimiterHint : 0
; COMPUTE_PGM_RSRC2:SCRATCH_EN: 0
; COMPUTE_PGM_RSRC2:USER_SGPR: 2
; COMPUTE_PGM_RSRC2:TRAP_HANDLER: 0
; COMPUTE_PGM_RSRC2:TGID_X_EN: 1
; COMPUTE_PGM_RSRC2:TGID_Y_EN: 0
; COMPUTE_PGM_RSRC2:TGID_Z_EN: 0
; COMPUTE_PGM_RSRC2:TIDIG_COMP_CNT: 0
	.section	.text._ZN2at6native12_GLOBAL__N_125multi_tensor_apply_kernelINS1_18TensorListMetadataILi2EEENS1_27BinaryOpScalarTensorFunctorIhLi2ELi1ELi1EEEJSt10multipliesIhEPhhEEEvT_T0_DpT1_,"axG",@progbits,_ZN2at6native12_GLOBAL__N_125multi_tensor_apply_kernelINS1_18TensorListMetadataILi2EEENS1_27BinaryOpScalarTensorFunctorIhLi2ELi1ELi1EEEJSt10multipliesIhEPhhEEEvT_T0_DpT1_,comdat
	.globl	_ZN2at6native12_GLOBAL__N_125multi_tensor_apply_kernelINS1_18TensorListMetadataILi2EEENS1_27BinaryOpScalarTensorFunctorIhLi2ELi1ELi1EEEJSt10multipliesIhEPhhEEEvT_T0_DpT1_ ; -- Begin function _ZN2at6native12_GLOBAL__N_125multi_tensor_apply_kernelINS1_18TensorListMetadataILi2EEENS1_27BinaryOpScalarTensorFunctorIhLi2ELi1ELi1EEEJSt10multipliesIhEPhhEEEvT_T0_DpT1_
	.p2align	8
	.type	_ZN2at6native12_GLOBAL__N_125multi_tensor_apply_kernelINS1_18TensorListMetadataILi2EEENS1_27BinaryOpScalarTensorFunctorIhLi2ELi1ELi1EEEJSt10multipliesIhEPhhEEEvT_T0_DpT1_,@function
_ZN2at6native12_GLOBAL__N_125multi_tensor_apply_kernelINS1_18TensorListMetadataILi2EEENS1_27BinaryOpScalarTensorFunctorIhLi2ELi1ELi1EEEJSt10multipliesIhEPhhEEEvT_T0_DpT1_: ; @_ZN2at6native12_GLOBAL__N_125multi_tensor_apply_kernelINS1_18TensorListMetadataILi2EEENS1_27BinaryOpScalarTensorFunctorIhLi2ELi1ELi1EEEJSt10multipliesIhEPhhEEEvT_T0_DpT1_
; %bb.0:
	s_mov_b32 s2, ttmp9
	s_mov_b32 s3, 0
	s_delay_alu instid0(SALU_CYCLE_1) | instskip(SKIP_1) | instid1(SALU_CYCLE_1)
	s_mul_u64 s[4:5], s[2:3], 3
	s_add_nc_u64 s[2:3], s[0:1], s[2:3]
	s_add_nc_u64 s[2:3], s[2:3], s[4:5]
	s_clause 0x1
	s_load_b32 s2, s[2:3], 0x740
	s_load_u8 s3, s[0:1], ttmp9 offset:0x600
	s_wait_kmcnt 0x0
	s_lshl_b32 s3, s3, 3
	s_clause 0x3
	s_load_b64 s[8:9], s[0:1], s3 offset:0x400
	s_load_b64 s[12:13], s[0:1], s3 offset:0x0
	;; [unrolled: 1-line block ×3, first 2 shown]
	s_load_b96 s[4:6], s[0:1], 0xc50
	s_ashr_i32 s3, s2, 31
	s_delay_alu instid0(SALU_CYCLE_1) | instskip(SKIP_4) | instid1(SALU_CYCLE_1)
	s_lshl_b64 s[16:17], s[2:3], 16
	s_wait_kmcnt 0x0
	s_sub_nc_u64 s[10:11], s[8:9], s[16:17]
	s_add_nc_u64 s[2:3], s[12:13], s[16:17]
	s_or_b32 s3, s8, s14
	s_or_b32 s2, s3, s2
	s_delay_alu instid0(SALU_CYCLE_1) | instskip(NEXT) | instid1(SALU_CYCLE_1)
	s_and_b32 s2, s2, 3
	s_cmp_eq_u32 s2, 0
	s_mov_b32 s2, -1
	s_cbranch_scc0 .LBB36_5
; %bb.1:
	v_cmp_gt_i64_e64 s2, 0x10000, s[10:11]
	v_dual_mov_b32 v3, 0 :: v_dual_lshlrev_b32 v2, 2, v0
	s_mov_b32 s3, exec_lo
	s_and_b32 s2, s2, exec_lo
	s_cselect_b32 s9, s11, 0
	s_cselect_b32 s8, s10, 0x10000
	s_delay_alu instid0(SALU_CYCLE_1)
	v_cmpx_gt_i64_e64 s[8:9], v[2:3]
	s_cbranch_execz .LBB36_4
; %bb.2:
	s_load_b32 s2, s[0:1], 0xc6c
	v_mov_b32_e32 v1, v3
	v_add_co_u32 v4, s7, s16, v2
	s_delay_alu instid0(VALU_DEP_1) | instskip(NEXT) | instid1(VALU_DEP_3)
	v_add_co_ci_u32_e64 v5, null, s17, 0, s7
	v_mov_b32_e32 v2, v1
	v_mov_b32_e32 v1, v0
	s_mov_b32 s18, 0
	s_wait_kmcnt 0x0
	s_and_b32 s7, s2, 0xffff
	s_wait_alu 0xfffe
	s_lshl_b32 s19, s7, 2
.LBB36_3:                               ; =>This Inner Loop Header: Depth=1
	v_add_co_u32 v6, vcc_lo, s12, v4
	s_wait_alu 0xfffd
	v_add_co_ci_u32_e64 v7, null, s13, v5, vcc_lo
	v_add_co_u32 v1, vcc_lo, v1, s7
	global_load_u8 v8, v3, s[4:5]
	global_load_b32 v6, v[6:7], off
	s_wait_alu 0xfffd
	v_add_co_ci_u32_e64 v2, null, 0, v2, vcc_lo
	s_wait_loadcnt 0x1
	v_mul_lo_u32 v7, v8, s6
	s_wait_loadcnt 0x0
	v_lshrrev_b16 v8, 8, v6
	v_lshrrev_b32_e32 v9, 24, v6
	v_lshrrev_b32_e32 v10, 16, v6
	s_delay_alu instid0(VALU_DEP_4) | instskip(NEXT) | instid1(VALU_DEP_4)
	v_mul_lo_u16 v6, v7, v6
	v_mul_lo_u16 v8, v7, v8
	s_delay_alu instid0(VALU_DEP_4) | instskip(NEXT) | instid1(VALU_DEP_4)
	v_mul_lo_u16 v9, v7, v9
	v_mul_lo_u16 v7, v7, v10
	s_delay_alu instid0(VALU_DEP_4) | instskip(NEXT) | instid1(VALU_DEP_4)
	v_and_b32_e32 v10, 0xff, v6
	v_lshlrev_b16 v11, 8, v8
	s_delay_alu instid0(VALU_DEP_4) | instskip(NEXT) | instid1(VALU_DEP_4)
	v_lshlrev_b16 v12, 8, v9
	v_and_b32_e32 v7, 0xff, v7
	v_lshlrev_b64_e32 v[8:9], 2, v[1:2]
	v_add_co_u32 v6, vcc_lo, s14, v4
	v_or_b32_e32 v10, v10, v11
	s_delay_alu instid0(VALU_DEP_4)
	v_or_b32_e32 v11, v7, v12
	s_wait_alu 0xfffd
	v_add_co_ci_u32_e64 v7, null, s15, v5, vcc_lo
	v_cmp_le_i64_e32 vcc_lo, s[8:9], v[8:9]
	v_and_b32_e32 v10, 0xffff, v10
	v_lshlrev_b32_e32 v11, 16, v11
	v_add_co_u32 v4, s2, v4, s19
	s_wait_alu 0xf1ff
	v_add_co_ci_u32_e64 v5, null, 0, v5, s2
	s_delay_alu instid0(VALU_DEP_3)
	v_or_b32_e32 v8, v10, v11
	s_or_b32 s18, vcc_lo, s18
	global_store_b32 v[6:7], v8, off
	s_wait_alu 0xfffe
	s_and_not1_b32 exec_lo, exec_lo, s18
	s_cbranch_execnz .LBB36_3
.LBB36_4:
	s_or_b32 exec_lo, exec_lo, s3
	s_mov_b32 s2, 0
.LBB36_5:
	s_wait_alu 0xfffe
	s_and_not1_b32 vcc_lo, exec_lo, s2
	s_wait_alu 0xfffe
	s_cbranch_vccnz .LBB36_25
; %bb.6:
	v_cmp_lt_i64_e64 s2, s[10:11], 1
	s_and_b32 vcc_lo, exec_lo, s2
	s_wait_alu 0xfffe
	s_cbranch_vccnz .LBB36_25
; %bb.7:
	s_load_b32 s0, s[0:1], 0xc6c
	v_cmp_gt_i64_e64 s2, 0x10000, s[10:11]
	v_cmp_gt_u64_e64 s7, 0x10000, s[10:11]
	s_mov_b32 s1, 0
	v_add_co_u32 v16, s3, s16, v0
	s_wait_alu 0xf1ff
	v_add_co_ci_u32_e64 v17, null, s17, 0, s3
	s_and_b32 s2, s2, exec_lo
	s_cselect_b32 s9, s11, 0
	s_cselect_b32 s8, s10, 0x10000
	s_mov_b32 s3, s1
	v_add_co_u32 v2, vcc_lo, s12, v16
	s_wait_alu 0xfffd
	v_add_co_ci_u32_e64 v3, null, s13, v17, vcc_lo
	v_add_co_u32 v4, vcc_lo, s14, v16
	s_wait_alu 0xfffd
	v_add_co_ci_u32_e64 v5, null, s15, v17, vcc_lo
	s_wait_kmcnt 0x0
	s_and_b32 s20, s0, 0xffff
	s_and_b32 s0, s7, exec_lo
	s_mul_i32 s2, s20, 3
	s_cselect_b32 s11, s11, 0
	s_wait_alu 0xfffe
	s_add_nc_u64 s[18:19], s[16:17], s[2:3]
	s_cselect_b32 s10, s10, 0x10000
	s_lshl_b32 s0, s20, 1
	s_wait_alu 0xfffe
	v_add_co_u32 v8, s3, s18, v0
	s_wait_alu 0xf1ff
	v_add_co_ci_u32_e64 v9, null, s19, 0, s3
	s_add_nc_u64 s[16:17], s[16:17], s[0:1]
	v_add_co_u32 v6, vcc_lo, s12, v8
	s_wait_alu 0xfffe
	v_add_co_u32 v14, s3, s16, v0
	s_wait_alu 0xf1ff
	v_add_co_ci_u32_e64 v15, null, s17, 0, s3
	s_wait_alu 0xfffd
	v_add_co_ci_u32_e64 v7, null, s13, v9, vcc_lo
	v_add_co_u32 v8, vcc_lo, s14, v8
	s_wait_alu 0xfffd
	v_add_co_ci_u32_e64 v9, null, s15, v9, vcc_lo
	v_add_co_u32 v12, vcc_lo, s12, v14
	;; [unrolled: 3-line block ×4, first 2 shown]
	s_wait_alu 0xfffd
	v_add_co_ci_u32_e64 v21, null, 0, v17, vcc_lo
	v_add_co_u32 v16, s0, s0, v0
	s_delay_alu instid0(VALU_DEP_3)
	v_add_co_u32 v18, vcc_lo, s12, v20
	v_add_co_u32 v10, s2, s2, v0
	s_wait_alu 0xf1ff
	v_add_co_ci_u32_e64 v17, null, 0, 0, s0
	s_wait_alu 0xfffd
	v_add_co_ci_u32_e64 v19, null, s13, v21, vcc_lo
	v_add_co_u32 v20, vcc_lo, s14, v20
	v_add_co_u32 v22, s0, v0, s20
	v_mov_b32_e32 v1, 0
	v_add_co_ci_u32_e64 v11, null, 0, 0, s2
	s_wait_alu 0xfffd
	v_add_co_ci_u32_e64 v21, null, s15, v21, vcc_lo
	s_wait_alu 0xf1ff
	v_add_co_ci_u32_e64 v23, null, 0, 0, s0
	s_lshl_b32 s12, s20, 2
	s_mov_b32 s13, s1
	s_mov_b64 s[14:15], 0
	s_branch .LBB36_9
.LBB36_8:                               ;   in Loop: Header=BB36_9 Depth=1
	s_wait_alu 0xfffe
	s_or_b32 exec_lo, exec_lo, s0
	s_add_nc_u64 s[14:15], s[14:15], s[12:13]
	s_wait_alu 0xfffe
	v_cmp_ge_i64_e64 s0, s[14:15], s[8:9]
	s_and_b32 vcc_lo, exec_lo, s0
	s_wait_alu 0xfffe
	s_cbranch_vccnz .LBB36_25
.LBB36_9:                               ; =>This Inner Loop Header: Depth=1
	s_wait_alu 0xfffe
	v_add_co_u32 v24, s0, v0, s14
	s_wait_alu 0xf1ff
	v_add_co_ci_u32_e64 v25, null, 0, s15, s0
	s_delay_alu instid0(VALU_DEP_1)
	v_cmp_gt_u64_e32 vcc_lo, s[10:11], v[24:25]
	v_mov_b32_e32 v24, 0
	s_and_saveexec_b32 s1, vcc_lo
	s_cbranch_execz .LBB36_11
; %bb.10:                               ;   in Loop: Header=BB36_9 Depth=1
	v_add_co_u32 v24, s0, v2, s14
	s_wait_alu 0xf1ff
	v_add_co_ci_u32_e64 v25, null, s15, v3, s0
	global_load_u8 v24, v[24:25], off
.LBB36_11:                              ;   in Loop: Header=BB36_9 Depth=1
	s_wait_alu 0xfffe
	s_or_b32 exec_lo, exec_lo, s1
	v_add_co_u32 v25, s0, v22, s14
	s_wait_alu 0xf1ff
	v_add_co_ci_u32_e64 v26, null, s15, v23, s0
	s_delay_alu instid0(VALU_DEP_1)
	v_cmp_gt_u64_e64 s0, s[10:11], v[25:26]
	v_dual_mov_b32 v25, 0 :: v_dual_mov_b32 v26, 0
	s_and_saveexec_b32 s2, s0
	s_cbranch_execz .LBB36_13
; %bb.12:                               ;   in Loop: Header=BB36_9 Depth=1
	v_add_co_u32 v26, s1, v18, s14
	s_wait_alu 0xf1ff
	v_add_co_ci_u32_e64 v27, null, s15, v19, s1
	global_load_u8 v26, v[26:27], off
.LBB36_13:                              ;   in Loop: Header=BB36_9 Depth=1
	s_wait_alu 0xfffe
	s_or_b32 exec_lo, exec_lo, s2
	v_add_co_u32 v27, s1, v16, s14
	s_wait_alu 0xf1ff
	v_add_co_ci_u32_e64 v28, null, s15, v17, s1
	s_delay_alu instid0(VALU_DEP_1)
	v_cmp_gt_u64_e64 s1, s[10:11], v[27:28]
	s_and_saveexec_b32 s3, s1
	s_cbranch_execz .LBB36_15
; %bb.14:                               ;   in Loop: Header=BB36_9 Depth=1
	v_add_co_u32 v27, s2, v12, s14
	s_wait_alu 0xf1ff
	v_add_co_ci_u32_e64 v28, null, s15, v13, s2
	global_load_u8 v25, v[27:28], off
.LBB36_15:                              ;   in Loop: Header=BB36_9 Depth=1
	s_wait_alu 0xfffe
	s_or_b32 exec_lo, exec_lo, s3
	v_add_co_u32 v27, s2, v10, s14
	s_wait_alu 0xf1ff
	v_add_co_ci_u32_e64 v28, null, s15, v11, s2
	s_delay_alu instid0(VALU_DEP_1)
	v_cmp_gt_u64_e64 s2, s[10:11], v[27:28]
	v_mov_b32_e32 v27, 0
	s_and_saveexec_b32 s7, s2
	s_cbranch_execz .LBB36_17
; %bb.16:                               ;   in Loop: Header=BB36_9 Depth=1
	v_add_co_u32 v27, s3, v6, s14
	s_wait_alu 0xf1ff
	v_add_co_ci_u32_e64 v28, null, s15, v7, s3
	global_load_u8 v27, v[27:28], off
.LBB36_17:                              ;   in Loop: Header=BB36_9 Depth=1
	s_wait_alu 0xfffe
	s_or_b32 exec_lo, exec_lo, s7
	global_load_u8 v28, v1, s[4:5]
	s_wait_loadcnt 0x0
	v_mul_lo_u32 v28, v28, s6
	s_delay_alu instid0(VALU_DEP_1) | instskip(SKIP_3) | instid1(VALU_DEP_4)
	v_mul_lo_u16 v26, v28, v26
	v_mul_lo_u16 v24, v28, v24
	;; [unrolled: 1-line block ×4, first 2 shown]
	v_lshlrev_b16 v26, 8, v26
	s_delay_alu instid0(VALU_DEP_4) | instskip(NEXT) | instid1(VALU_DEP_4)
	v_and_b32_e32 v24, 0xff, v24
	v_lshlrev_b16 v27, 8, v27
	s_delay_alu instid0(VALU_DEP_4) | instskip(NEXT) | instid1(VALU_DEP_3)
	v_and_b32_e32 v25, 0xff, v25
	v_or_b32_e32 v24, v24, v26
	s_delay_alu instid0(VALU_DEP_2) | instskip(NEXT) | instid1(VALU_DEP_2)
	v_or_b32_e32 v25, v25, v27
	v_and_b32_e32 v24, 0xffff, v24
	s_delay_alu instid0(VALU_DEP_2) | instskip(NEXT) | instid1(VALU_DEP_1)
	v_lshlrev_b32_e32 v25, 16, v25
	v_or_b32_e32 v24, v24, v25
	s_and_saveexec_b32 s3, vcc_lo
	s_cbranch_execnz .LBB36_21
; %bb.18:                               ;   in Loop: Header=BB36_9 Depth=1
	s_wait_alu 0xfffe
	s_or_b32 exec_lo, exec_lo, s3
	s_and_saveexec_b32 s3, s0
	s_cbranch_execnz .LBB36_22
.LBB36_19:                              ;   in Loop: Header=BB36_9 Depth=1
	s_wait_alu 0xfffe
	s_or_b32 exec_lo, exec_lo, s3
	s_and_saveexec_b32 s0, s1
	s_cbranch_execnz .LBB36_23
.LBB36_20:                              ;   in Loop: Header=BB36_9 Depth=1
	s_wait_alu 0xfffe
	s_or_b32 exec_lo, exec_lo, s0
	s_and_saveexec_b32 s0, s2
	s_cbranch_execz .LBB36_8
	s_branch .LBB36_24
.LBB36_21:                              ;   in Loop: Header=BB36_9 Depth=1
	v_add_co_u32 v25, vcc_lo, v4, s14
	s_wait_alu 0xfffd
	v_add_co_ci_u32_e64 v26, null, s15, v5, vcc_lo
	global_store_b8 v[25:26], v24, off
	s_wait_alu 0xfffe
	s_or_b32 exec_lo, exec_lo, s3
	s_and_saveexec_b32 s3, s0
	s_cbranch_execz .LBB36_19
.LBB36_22:                              ;   in Loop: Header=BB36_9 Depth=1
	v_add_co_u32 v25, vcc_lo, v20, s14
	s_wait_alu 0xfffd
	v_add_co_ci_u32_e64 v26, null, s15, v21, vcc_lo
	v_lshrrev_b32_e32 v27, 8, v24
	global_store_b8 v[25:26], v27, off
	s_wait_alu 0xfffe
	s_or_b32 exec_lo, exec_lo, s3
	s_and_saveexec_b32 s0, s1
	s_cbranch_execz .LBB36_20
.LBB36_23:                              ;   in Loop: Header=BB36_9 Depth=1
	v_add_co_u32 v25, vcc_lo, v14, s14
	s_wait_alu 0xfffd
	v_add_co_ci_u32_e64 v26, null, s15, v15, vcc_lo
	global_store_d16_hi_b8 v[25:26], v24, off
	s_wait_alu 0xfffe
	s_or_b32 exec_lo, exec_lo, s0
	s_and_saveexec_b32 s0, s2
	s_cbranch_execz .LBB36_8
.LBB36_24:                              ;   in Loop: Header=BB36_9 Depth=1
	v_add_co_u32 v25, vcc_lo, v8, s14
	s_wait_alu 0xfffd
	v_add_co_ci_u32_e64 v26, null, s15, v9, vcc_lo
	v_lshrrev_b32_e32 v24, 24, v24
	global_store_b8 v[25:26], v24, off
	s_branch .LBB36_8
.LBB36_25:
	s_endpgm
	.section	.rodata,"a",@progbits
	.p2align	6, 0x0
	.amdhsa_kernel _ZN2at6native12_GLOBAL__N_125multi_tensor_apply_kernelINS1_18TensorListMetadataILi2EEENS1_27BinaryOpScalarTensorFunctorIhLi2ELi1ELi1EEEJSt10multipliesIhEPhhEEEvT_T0_DpT1_
		.amdhsa_group_segment_fixed_size 0
		.amdhsa_private_segment_fixed_size 0
		.amdhsa_kernarg_size 3424
		.amdhsa_user_sgpr_count 2
		.amdhsa_user_sgpr_dispatch_ptr 0
		.amdhsa_user_sgpr_queue_ptr 0
		.amdhsa_user_sgpr_kernarg_segment_ptr 1
		.amdhsa_user_sgpr_dispatch_id 0
		.amdhsa_user_sgpr_private_segment_size 0
		.amdhsa_wavefront_size32 1
		.amdhsa_uses_dynamic_stack 0
		.amdhsa_enable_private_segment 0
		.amdhsa_system_sgpr_workgroup_id_x 1
		.amdhsa_system_sgpr_workgroup_id_y 0
		.amdhsa_system_sgpr_workgroup_id_z 0
		.amdhsa_system_sgpr_workgroup_info 0
		.amdhsa_system_vgpr_workitem_id 0
		.amdhsa_next_free_vgpr 29
		.amdhsa_next_free_sgpr 21
		.amdhsa_reserve_vcc 1
		.amdhsa_float_round_mode_32 0
		.amdhsa_float_round_mode_16_64 0
		.amdhsa_float_denorm_mode_32 3
		.amdhsa_float_denorm_mode_16_64 3
		.amdhsa_fp16_overflow 0
		.amdhsa_workgroup_processor_mode 1
		.amdhsa_memory_ordered 1
		.amdhsa_forward_progress 1
		.amdhsa_inst_pref_size 14
		.amdhsa_round_robin_scheduling 0
		.amdhsa_exception_fp_ieee_invalid_op 0
		.amdhsa_exception_fp_denorm_src 0
		.amdhsa_exception_fp_ieee_div_zero 0
		.amdhsa_exception_fp_ieee_overflow 0
		.amdhsa_exception_fp_ieee_underflow 0
		.amdhsa_exception_fp_ieee_inexact 0
		.amdhsa_exception_int_div_zero 0
	.end_amdhsa_kernel
	.section	.text._ZN2at6native12_GLOBAL__N_125multi_tensor_apply_kernelINS1_18TensorListMetadataILi2EEENS1_27BinaryOpScalarTensorFunctorIhLi2ELi1ELi1EEEJSt10multipliesIhEPhhEEEvT_T0_DpT1_,"axG",@progbits,_ZN2at6native12_GLOBAL__N_125multi_tensor_apply_kernelINS1_18TensorListMetadataILi2EEENS1_27BinaryOpScalarTensorFunctorIhLi2ELi1ELi1EEEJSt10multipliesIhEPhhEEEvT_T0_DpT1_,comdat
.Lfunc_end36:
	.size	_ZN2at6native12_GLOBAL__N_125multi_tensor_apply_kernelINS1_18TensorListMetadataILi2EEENS1_27BinaryOpScalarTensorFunctorIhLi2ELi1ELi1EEEJSt10multipliesIhEPhhEEEvT_T0_DpT1_, .Lfunc_end36-_ZN2at6native12_GLOBAL__N_125multi_tensor_apply_kernelINS1_18TensorListMetadataILi2EEENS1_27BinaryOpScalarTensorFunctorIhLi2ELi1ELi1EEEJSt10multipliesIhEPhhEEEvT_T0_DpT1_
                                        ; -- End function
	.set _ZN2at6native12_GLOBAL__N_125multi_tensor_apply_kernelINS1_18TensorListMetadataILi2EEENS1_27BinaryOpScalarTensorFunctorIhLi2ELi1ELi1EEEJSt10multipliesIhEPhhEEEvT_T0_DpT1_.num_vgpr, 29
	.set _ZN2at6native12_GLOBAL__N_125multi_tensor_apply_kernelINS1_18TensorListMetadataILi2EEENS1_27BinaryOpScalarTensorFunctorIhLi2ELi1ELi1EEEJSt10multipliesIhEPhhEEEvT_T0_DpT1_.num_agpr, 0
	.set _ZN2at6native12_GLOBAL__N_125multi_tensor_apply_kernelINS1_18TensorListMetadataILi2EEENS1_27BinaryOpScalarTensorFunctorIhLi2ELi1ELi1EEEJSt10multipliesIhEPhhEEEvT_T0_DpT1_.numbered_sgpr, 21
	.set _ZN2at6native12_GLOBAL__N_125multi_tensor_apply_kernelINS1_18TensorListMetadataILi2EEENS1_27BinaryOpScalarTensorFunctorIhLi2ELi1ELi1EEEJSt10multipliesIhEPhhEEEvT_T0_DpT1_.num_named_barrier, 0
	.set _ZN2at6native12_GLOBAL__N_125multi_tensor_apply_kernelINS1_18TensorListMetadataILi2EEENS1_27BinaryOpScalarTensorFunctorIhLi2ELi1ELi1EEEJSt10multipliesIhEPhhEEEvT_T0_DpT1_.private_seg_size, 0
	.set _ZN2at6native12_GLOBAL__N_125multi_tensor_apply_kernelINS1_18TensorListMetadataILi2EEENS1_27BinaryOpScalarTensorFunctorIhLi2ELi1ELi1EEEJSt10multipliesIhEPhhEEEvT_T0_DpT1_.uses_vcc, 1
	.set _ZN2at6native12_GLOBAL__N_125multi_tensor_apply_kernelINS1_18TensorListMetadataILi2EEENS1_27BinaryOpScalarTensorFunctorIhLi2ELi1ELi1EEEJSt10multipliesIhEPhhEEEvT_T0_DpT1_.uses_flat_scratch, 0
	.set _ZN2at6native12_GLOBAL__N_125multi_tensor_apply_kernelINS1_18TensorListMetadataILi2EEENS1_27BinaryOpScalarTensorFunctorIhLi2ELi1ELi1EEEJSt10multipliesIhEPhhEEEvT_T0_DpT1_.has_dyn_sized_stack, 0
	.set _ZN2at6native12_GLOBAL__N_125multi_tensor_apply_kernelINS1_18TensorListMetadataILi2EEENS1_27BinaryOpScalarTensorFunctorIhLi2ELi1ELi1EEEJSt10multipliesIhEPhhEEEvT_T0_DpT1_.has_recursion, 0
	.set _ZN2at6native12_GLOBAL__N_125multi_tensor_apply_kernelINS1_18TensorListMetadataILi2EEENS1_27BinaryOpScalarTensorFunctorIhLi2ELi1ELi1EEEJSt10multipliesIhEPhhEEEvT_T0_DpT1_.has_indirect_call, 0
	.section	.AMDGPU.csdata,"",@progbits
; Kernel info:
; codeLenInByte = 1776
; TotalNumSgprs: 23
; NumVgprs: 29
; ScratchSize: 0
; MemoryBound: 0
; FloatMode: 240
; IeeeMode: 1
; LDSByteSize: 0 bytes/workgroup (compile time only)
; SGPRBlocks: 0
; VGPRBlocks: 3
; NumSGPRsForWavesPerEU: 23
; NumVGPRsForWavesPerEU: 29
; Occupancy: 16
; WaveLimiterHint : 0
; COMPUTE_PGM_RSRC2:SCRATCH_EN: 0
; COMPUTE_PGM_RSRC2:USER_SGPR: 2
; COMPUTE_PGM_RSRC2:TRAP_HANDLER: 0
; COMPUTE_PGM_RSRC2:TGID_X_EN: 1
; COMPUTE_PGM_RSRC2:TGID_Y_EN: 0
; COMPUTE_PGM_RSRC2:TGID_Z_EN: 0
; COMPUTE_PGM_RSRC2:TIDIG_COMP_CNT: 0
	.section	.text._ZN2at6native12_GLOBAL__N_125multi_tensor_apply_kernelINS1_18TensorListMetadataILi2EEENS1_27BinaryOpScalarTensorFunctorIaLi2ELi1ELi1EEEJSt10multipliesIaEPaaEEEvT_T0_DpT1_,"axG",@progbits,_ZN2at6native12_GLOBAL__N_125multi_tensor_apply_kernelINS1_18TensorListMetadataILi2EEENS1_27BinaryOpScalarTensorFunctorIaLi2ELi1ELi1EEEJSt10multipliesIaEPaaEEEvT_T0_DpT1_,comdat
	.globl	_ZN2at6native12_GLOBAL__N_125multi_tensor_apply_kernelINS1_18TensorListMetadataILi2EEENS1_27BinaryOpScalarTensorFunctorIaLi2ELi1ELi1EEEJSt10multipliesIaEPaaEEEvT_T0_DpT1_ ; -- Begin function _ZN2at6native12_GLOBAL__N_125multi_tensor_apply_kernelINS1_18TensorListMetadataILi2EEENS1_27BinaryOpScalarTensorFunctorIaLi2ELi1ELi1EEEJSt10multipliesIaEPaaEEEvT_T0_DpT1_
	.p2align	8
	.type	_ZN2at6native12_GLOBAL__N_125multi_tensor_apply_kernelINS1_18TensorListMetadataILi2EEENS1_27BinaryOpScalarTensorFunctorIaLi2ELi1ELi1EEEJSt10multipliesIaEPaaEEEvT_T0_DpT1_,@function
_ZN2at6native12_GLOBAL__N_125multi_tensor_apply_kernelINS1_18TensorListMetadataILi2EEENS1_27BinaryOpScalarTensorFunctorIaLi2ELi1ELi1EEEJSt10multipliesIaEPaaEEEvT_T0_DpT1_: ; @_ZN2at6native12_GLOBAL__N_125multi_tensor_apply_kernelINS1_18TensorListMetadataILi2EEENS1_27BinaryOpScalarTensorFunctorIaLi2ELi1ELi1EEEJSt10multipliesIaEPaaEEEvT_T0_DpT1_
; %bb.0:
	s_mov_b32 s2, ttmp9
	s_mov_b32 s3, 0
	s_delay_alu instid0(SALU_CYCLE_1) | instskip(SKIP_1) | instid1(SALU_CYCLE_1)
	s_mul_u64 s[4:5], s[2:3], 3
	s_add_nc_u64 s[2:3], s[0:1], s[2:3]
	s_add_nc_u64 s[2:3], s[2:3], s[4:5]
	s_clause 0x1
	s_load_b32 s2, s[2:3], 0x740
	s_load_u8 s3, s[0:1], ttmp9 offset:0x600
	s_wait_kmcnt 0x0
	s_lshl_b32 s3, s3, 3
	s_clause 0x3
	s_load_b64 s[8:9], s[0:1], s3 offset:0x400
	s_load_b64 s[12:13], s[0:1], s3 offset:0x0
	;; [unrolled: 1-line block ×3, first 2 shown]
	s_load_b96 s[4:6], s[0:1], 0xc50
	s_ashr_i32 s3, s2, 31
	s_delay_alu instid0(SALU_CYCLE_1) | instskip(SKIP_4) | instid1(SALU_CYCLE_1)
	s_lshl_b64 s[16:17], s[2:3], 16
	s_wait_kmcnt 0x0
	s_sub_nc_u64 s[10:11], s[8:9], s[16:17]
	s_add_nc_u64 s[2:3], s[12:13], s[16:17]
	s_or_b32 s3, s8, s14
	s_or_b32 s2, s3, s2
	s_delay_alu instid0(SALU_CYCLE_1) | instskip(NEXT) | instid1(SALU_CYCLE_1)
	s_and_b32 s2, s2, 3
	s_cmp_eq_u32 s2, 0
	s_mov_b32 s2, -1
	s_cbranch_scc0 .LBB37_5
; %bb.1:
	v_cmp_gt_i64_e64 s2, 0x10000, s[10:11]
	v_dual_mov_b32 v3, 0 :: v_dual_lshlrev_b32 v2, 2, v0
	s_mov_b32 s3, exec_lo
	s_and_b32 s2, s2, exec_lo
	s_cselect_b32 s9, s11, 0
	s_cselect_b32 s8, s10, 0x10000
	s_delay_alu instid0(SALU_CYCLE_1)
	v_cmpx_gt_i64_e64 s[8:9], v[2:3]
	s_cbranch_execz .LBB37_4
; %bb.2:
	s_load_b32 s2, s[0:1], 0xc6c
	v_mov_b32_e32 v1, v3
	v_add_co_u32 v4, s7, s16, v2
	s_delay_alu instid0(VALU_DEP_1) | instskip(NEXT) | instid1(VALU_DEP_3)
	v_add_co_ci_u32_e64 v5, null, s17, 0, s7
	v_mov_b32_e32 v2, v1
	v_mov_b32_e32 v1, v0
	s_mov_b32 s18, 0
	s_wait_kmcnt 0x0
	s_and_b32 s7, s2, 0xffff
	s_wait_alu 0xfffe
	s_lshl_b32 s19, s7, 2
.LBB37_3:                               ; =>This Inner Loop Header: Depth=1
	v_add_co_u32 v6, vcc_lo, s12, v4
	s_wait_alu 0xfffd
	v_add_co_ci_u32_e64 v7, null, s13, v5, vcc_lo
	v_add_co_u32 v1, vcc_lo, v1, s7
	global_load_u8 v8, v3, s[4:5]
	global_load_b32 v6, v[6:7], off
	s_wait_alu 0xfffd
	v_add_co_ci_u32_e64 v2, null, 0, v2, vcc_lo
	s_wait_loadcnt 0x1
	v_mul_lo_u32 v7, v8, s6
	s_wait_loadcnt 0x0
	v_lshrrev_b16 v8, 8, v6
	v_lshrrev_b32_e32 v9, 24, v6
	v_lshrrev_b32_e32 v10, 16, v6
	s_delay_alu instid0(VALU_DEP_4) | instskip(NEXT) | instid1(VALU_DEP_4)
	v_mul_lo_u16 v6, v7, v6
	v_mul_lo_u16 v8, v7, v8
	s_delay_alu instid0(VALU_DEP_4) | instskip(NEXT) | instid1(VALU_DEP_4)
	v_mul_lo_u16 v9, v7, v9
	v_mul_lo_u16 v7, v7, v10
	s_delay_alu instid0(VALU_DEP_4) | instskip(NEXT) | instid1(VALU_DEP_4)
	v_and_b32_e32 v10, 0xff, v6
	v_lshlrev_b16 v11, 8, v8
	s_delay_alu instid0(VALU_DEP_4) | instskip(NEXT) | instid1(VALU_DEP_4)
	v_lshlrev_b16 v12, 8, v9
	v_and_b32_e32 v7, 0xff, v7
	v_lshlrev_b64_e32 v[8:9], 2, v[1:2]
	v_add_co_u32 v6, vcc_lo, s14, v4
	v_or_b32_e32 v10, v10, v11
	s_delay_alu instid0(VALU_DEP_4)
	v_or_b32_e32 v11, v7, v12
	s_wait_alu 0xfffd
	v_add_co_ci_u32_e64 v7, null, s15, v5, vcc_lo
	v_cmp_le_i64_e32 vcc_lo, s[8:9], v[8:9]
	v_and_b32_e32 v10, 0xffff, v10
	v_lshlrev_b32_e32 v11, 16, v11
	v_add_co_u32 v4, s2, v4, s19
	s_wait_alu 0xf1ff
	v_add_co_ci_u32_e64 v5, null, 0, v5, s2
	s_delay_alu instid0(VALU_DEP_3)
	v_or_b32_e32 v8, v10, v11
	s_or_b32 s18, vcc_lo, s18
	global_store_b32 v[6:7], v8, off
	s_wait_alu 0xfffe
	s_and_not1_b32 exec_lo, exec_lo, s18
	s_cbranch_execnz .LBB37_3
.LBB37_4:
	s_or_b32 exec_lo, exec_lo, s3
	s_mov_b32 s2, 0
.LBB37_5:
	s_wait_alu 0xfffe
	s_and_not1_b32 vcc_lo, exec_lo, s2
	s_wait_alu 0xfffe
	s_cbranch_vccnz .LBB37_25
; %bb.6:
	v_cmp_lt_i64_e64 s2, s[10:11], 1
	s_and_b32 vcc_lo, exec_lo, s2
	s_wait_alu 0xfffe
	s_cbranch_vccnz .LBB37_25
; %bb.7:
	s_load_b32 s0, s[0:1], 0xc6c
	v_cmp_gt_i64_e64 s2, 0x10000, s[10:11]
	v_cmp_gt_u64_e64 s7, 0x10000, s[10:11]
	s_mov_b32 s1, 0
	v_add_co_u32 v16, s3, s16, v0
	s_wait_alu 0xf1ff
	v_add_co_ci_u32_e64 v17, null, s17, 0, s3
	s_and_b32 s2, s2, exec_lo
	s_cselect_b32 s9, s11, 0
	s_cselect_b32 s8, s10, 0x10000
	s_mov_b32 s3, s1
	v_add_co_u32 v2, vcc_lo, s12, v16
	s_wait_alu 0xfffd
	v_add_co_ci_u32_e64 v3, null, s13, v17, vcc_lo
	v_add_co_u32 v4, vcc_lo, s14, v16
	s_wait_alu 0xfffd
	v_add_co_ci_u32_e64 v5, null, s15, v17, vcc_lo
	s_wait_kmcnt 0x0
	s_and_b32 s20, s0, 0xffff
	s_and_b32 s0, s7, exec_lo
	s_mul_i32 s2, s20, 3
	s_cselect_b32 s11, s11, 0
	s_wait_alu 0xfffe
	s_add_nc_u64 s[18:19], s[16:17], s[2:3]
	s_cselect_b32 s10, s10, 0x10000
	s_lshl_b32 s0, s20, 1
	s_wait_alu 0xfffe
	v_add_co_u32 v8, s3, s18, v0
	s_wait_alu 0xf1ff
	v_add_co_ci_u32_e64 v9, null, s19, 0, s3
	s_add_nc_u64 s[16:17], s[16:17], s[0:1]
	v_add_co_u32 v6, vcc_lo, s12, v8
	s_wait_alu 0xfffe
	v_add_co_u32 v14, s3, s16, v0
	s_wait_alu 0xf1ff
	v_add_co_ci_u32_e64 v15, null, s17, 0, s3
	s_wait_alu 0xfffd
	v_add_co_ci_u32_e64 v7, null, s13, v9, vcc_lo
	v_add_co_u32 v8, vcc_lo, s14, v8
	s_wait_alu 0xfffd
	v_add_co_ci_u32_e64 v9, null, s15, v9, vcc_lo
	v_add_co_u32 v12, vcc_lo, s12, v14
	;; [unrolled: 3-line block ×4, first 2 shown]
	s_wait_alu 0xfffd
	v_add_co_ci_u32_e64 v21, null, 0, v17, vcc_lo
	v_add_co_u32 v16, s0, s0, v0
	s_delay_alu instid0(VALU_DEP_3)
	v_add_co_u32 v18, vcc_lo, s12, v20
	v_add_co_u32 v10, s2, s2, v0
	s_wait_alu 0xf1ff
	v_add_co_ci_u32_e64 v17, null, 0, 0, s0
	s_wait_alu 0xfffd
	v_add_co_ci_u32_e64 v19, null, s13, v21, vcc_lo
	v_add_co_u32 v20, vcc_lo, s14, v20
	v_add_co_u32 v22, s0, v0, s20
	v_mov_b32_e32 v1, 0
	v_add_co_ci_u32_e64 v11, null, 0, 0, s2
	s_wait_alu 0xfffd
	v_add_co_ci_u32_e64 v21, null, s15, v21, vcc_lo
	s_wait_alu 0xf1ff
	v_add_co_ci_u32_e64 v23, null, 0, 0, s0
	s_lshl_b32 s12, s20, 2
	s_mov_b32 s13, s1
	s_mov_b64 s[14:15], 0
	s_branch .LBB37_9
.LBB37_8:                               ;   in Loop: Header=BB37_9 Depth=1
	s_wait_alu 0xfffe
	s_or_b32 exec_lo, exec_lo, s0
	s_add_nc_u64 s[14:15], s[14:15], s[12:13]
	s_wait_alu 0xfffe
	v_cmp_ge_i64_e64 s0, s[14:15], s[8:9]
	s_and_b32 vcc_lo, exec_lo, s0
	s_wait_alu 0xfffe
	s_cbranch_vccnz .LBB37_25
.LBB37_9:                               ; =>This Inner Loop Header: Depth=1
	s_wait_alu 0xfffe
	v_add_co_u32 v24, s0, v0, s14
	s_wait_alu 0xf1ff
	v_add_co_ci_u32_e64 v25, null, 0, s15, s0
	s_delay_alu instid0(VALU_DEP_1)
	v_cmp_gt_u64_e32 vcc_lo, s[10:11], v[24:25]
	v_mov_b32_e32 v24, 0
	s_and_saveexec_b32 s1, vcc_lo
	s_cbranch_execz .LBB37_11
; %bb.10:                               ;   in Loop: Header=BB37_9 Depth=1
	v_add_co_u32 v24, s0, v2, s14
	s_wait_alu 0xf1ff
	v_add_co_ci_u32_e64 v25, null, s15, v3, s0
	global_load_u8 v24, v[24:25], off
.LBB37_11:                              ;   in Loop: Header=BB37_9 Depth=1
	s_wait_alu 0xfffe
	s_or_b32 exec_lo, exec_lo, s1
	v_add_co_u32 v25, s0, v22, s14
	s_wait_alu 0xf1ff
	v_add_co_ci_u32_e64 v26, null, s15, v23, s0
	s_delay_alu instid0(VALU_DEP_1)
	v_cmp_gt_u64_e64 s0, s[10:11], v[25:26]
	v_dual_mov_b32 v25, 0 :: v_dual_mov_b32 v26, 0
	s_and_saveexec_b32 s2, s0
	s_cbranch_execz .LBB37_13
; %bb.12:                               ;   in Loop: Header=BB37_9 Depth=1
	v_add_co_u32 v26, s1, v18, s14
	s_wait_alu 0xf1ff
	v_add_co_ci_u32_e64 v27, null, s15, v19, s1
	global_load_u8 v26, v[26:27], off
.LBB37_13:                              ;   in Loop: Header=BB37_9 Depth=1
	s_wait_alu 0xfffe
	s_or_b32 exec_lo, exec_lo, s2
	v_add_co_u32 v27, s1, v16, s14
	s_wait_alu 0xf1ff
	v_add_co_ci_u32_e64 v28, null, s15, v17, s1
	s_delay_alu instid0(VALU_DEP_1)
	v_cmp_gt_u64_e64 s1, s[10:11], v[27:28]
	s_and_saveexec_b32 s3, s1
	s_cbranch_execz .LBB37_15
; %bb.14:                               ;   in Loop: Header=BB37_9 Depth=1
	v_add_co_u32 v27, s2, v12, s14
	s_wait_alu 0xf1ff
	v_add_co_ci_u32_e64 v28, null, s15, v13, s2
	global_load_u8 v25, v[27:28], off
.LBB37_15:                              ;   in Loop: Header=BB37_9 Depth=1
	s_wait_alu 0xfffe
	s_or_b32 exec_lo, exec_lo, s3
	v_add_co_u32 v27, s2, v10, s14
	s_wait_alu 0xf1ff
	v_add_co_ci_u32_e64 v28, null, s15, v11, s2
	s_delay_alu instid0(VALU_DEP_1)
	v_cmp_gt_u64_e64 s2, s[10:11], v[27:28]
	v_mov_b32_e32 v27, 0
	s_and_saveexec_b32 s7, s2
	s_cbranch_execz .LBB37_17
; %bb.16:                               ;   in Loop: Header=BB37_9 Depth=1
	v_add_co_u32 v27, s3, v6, s14
	s_wait_alu 0xf1ff
	v_add_co_ci_u32_e64 v28, null, s15, v7, s3
	global_load_u8 v27, v[27:28], off
.LBB37_17:                              ;   in Loop: Header=BB37_9 Depth=1
	s_wait_alu 0xfffe
	s_or_b32 exec_lo, exec_lo, s7
	global_load_u8 v28, v1, s[4:5]
	s_wait_loadcnt 0x0
	v_mul_lo_u32 v28, v28, s6
	s_delay_alu instid0(VALU_DEP_1) | instskip(SKIP_3) | instid1(VALU_DEP_4)
	v_mul_lo_u16 v26, v28, v26
	v_mul_lo_u16 v24, v28, v24
	;; [unrolled: 1-line block ×4, first 2 shown]
	v_lshlrev_b16 v26, 8, v26
	s_delay_alu instid0(VALU_DEP_4) | instskip(NEXT) | instid1(VALU_DEP_4)
	v_and_b32_e32 v24, 0xff, v24
	v_lshlrev_b16 v27, 8, v27
	s_delay_alu instid0(VALU_DEP_4) | instskip(NEXT) | instid1(VALU_DEP_3)
	v_and_b32_e32 v25, 0xff, v25
	v_or_b32_e32 v24, v24, v26
	s_delay_alu instid0(VALU_DEP_2) | instskip(NEXT) | instid1(VALU_DEP_2)
	v_or_b32_e32 v25, v25, v27
	v_and_b32_e32 v24, 0xffff, v24
	s_delay_alu instid0(VALU_DEP_2) | instskip(NEXT) | instid1(VALU_DEP_1)
	v_lshlrev_b32_e32 v25, 16, v25
	v_or_b32_e32 v24, v24, v25
	s_and_saveexec_b32 s3, vcc_lo
	s_cbranch_execnz .LBB37_21
; %bb.18:                               ;   in Loop: Header=BB37_9 Depth=1
	s_wait_alu 0xfffe
	s_or_b32 exec_lo, exec_lo, s3
	s_and_saveexec_b32 s3, s0
	s_cbranch_execnz .LBB37_22
.LBB37_19:                              ;   in Loop: Header=BB37_9 Depth=1
	s_wait_alu 0xfffe
	s_or_b32 exec_lo, exec_lo, s3
	s_and_saveexec_b32 s0, s1
	s_cbranch_execnz .LBB37_23
.LBB37_20:                              ;   in Loop: Header=BB37_9 Depth=1
	s_wait_alu 0xfffe
	s_or_b32 exec_lo, exec_lo, s0
	s_and_saveexec_b32 s0, s2
	s_cbranch_execz .LBB37_8
	s_branch .LBB37_24
.LBB37_21:                              ;   in Loop: Header=BB37_9 Depth=1
	v_add_co_u32 v25, vcc_lo, v4, s14
	s_wait_alu 0xfffd
	v_add_co_ci_u32_e64 v26, null, s15, v5, vcc_lo
	global_store_b8 v[25:26], v24, off
	s_wait_alu 0xfffe
	s_or_b32 exec_lo, exec_lo, s3
	s_and_saveexec_b32 s3, s0
	s_cbranch_execz .LBB37_19
.LBB37_22:                              ;   in Loop: Header=BB37_9 Depth=1
	v_add_co_u32 v25, vcc_lo, v20, s14
	s_wait_alu 0xfffd
	v_add_co_ci_u32_e64 v26, null, s15, v21, vcc_lo
	v_lshrrev_b32_e32 v27, 8, v24
	global_store_b8 v[25:26], v27, off
	s_wait_alu 0xfffe
	s_or_b32 exec_lo, exec_lo, s3
	s_and_saveexec_b32 s0, s1
	s_cbranch_execz .LBB37_20
.LBB37_23:                              ;   in Loop: Header=BB37_9 Depth=1
	v_add_co_u32 v25, vcc_lo, v14, s14
	s_wait_alu 0xfffd
	v_add_co_ci_u32_e64 v26, null, s15, v15, vcc_lo
	global_store_d16_hi_b8 v[25:26], v24, off
	s_wait_alu 0xfffe
	s_or_b32 exec_lo, exec_lo, s0
	s_and_saveexec_b32 s0, s2
	s_cbranch_execz .LBB37_8
.LBB37_24:                              ;   in Loop: Header=BB37_9 Depth=1
	v_add_co_u32 v25, vcc_lo, v8, s14
	s_wait_alu 0xfffd
	v_add_co_ci_u32_e64 v26, null, s15, v9, vcc_lo
	v_lshrrev_b32_e32 v24, 24, v24
	global_store_b8 v[25:26], v24, off
	s_branch .LBB37_8
.LBB37_25:
	s_endpgm
	.section	.rodata,"a",@progbits
	.p2align	6, 0x0
	.amdhsa_kernel _ZN2at6native12_GLOBAL__N_125multi_tensor_apply_kernelINS1_18TensorListMetadataILi2EEENS1_27BinaryOpScalarTensorFunctorIaLi2ELi1ELi1EEEJSt10multipliesIaEPaaEEEvT_T0_DpT1_
		.amdhsa_group_segment_fixed_size 0
		.amdhsa_private_segment_fixed_size 0
		.amdhsa_kernarg_size 3424
		.amdhsa_user_sgpr_count 2
		.amdhsa_user_sgpr_dispatch_ptr 0
		.amdhsa_user_sgpr_queue_ptr 0
		.amdhsa_user_sgpr_kernarg_segment_ptr 1
		.amdhsa_user_sgpr_dispatch_id 0
		.amdhsa_user_sgpr_private_segment_size 0
		.amdhsa_wavefront_size32 1
		.amdhsa_uses_dynamic_stack 0
		.amdhsa_enable_private_segment 0
		.amdhsa_system_sgpr_workgroup_id_x 1
		.amdhsa_system_sgpr_workgroup_id_y 0
		.amdhsa_system_sgpr_workgroup_id_z 0
		.amdhsa_system_sgpr_workgroup_info 0
		.amdhsa_system_vgpr_workitem_id 0
		.amdhsa_next_free_vgpr 29
		.amdhsa_next_free_sgpr 21
		.amdhsa_reserve_vcc 1
		.amdhsa_float_round_mode_32 0
		.amdhsa_float_round_mode_16_64 0
		.amdhsa_float_denorm_mode_32 3
		.amdhsa_float_denorm_mode_16_64 3
		.amdhsa_fp16_overflow 0
		.amdhsa_workgroup_processor_mode 1
		.amdhsa_memory_ordered 1
		.amdhsa_forward_progress 1
		.amdhsa_inst_pref_size 14
		.amdhsa_round_robin_scheduling 0
		.amdhsa_exception_fp_ieee_invalid_op 0
		.amdhsa_exception_fp_denorm_src 0
		.amdhsa_exception_fp_ieee_div_zero 0
		.amdhsa_exception_fp_ieee_overflow 0
		.amdhsa_exception_fp_ieee_underflow 0
		.amdhsa_exception_fp_ieee_inexact 0
		.amdhsa_exception_int_div_zero 0
	.end_amdhsa_kernel
	.section	.text._ZN2at6native12_GLOBAL__N_125multi_tensor_apply_kernelINS1_18TensorListMetadataILi2EEENS1_27BinaryOpScalarTensorFunctorIaLi2ELi1ELi1EEEJSt10multipliesIaEPaaEEEvT_T0_DpT1_,"axG",@progbits,_ZN2at6native12_GLOBAL__N_125multi_tensor_apply_kernelINS1_18TensorListMetadataILi2EEENS1_27BinaryOpScalarTensorFunctorIaLi2ELi1ELi1EEEJSt10multipliesIaEPaaEEEvT_T0_DpT1_,comdat
.Lfunc_end37:
	.size	_ZN2at6native12_GLOBAL__N_125multi_tensor_apply_kernelINS1_18TensorListMetadataILi2EEENS1_27BinaryOpScalarTensorFunctorIaLi2ELi1ELi1EEEJSt10multipliesIaEPaaEEEvT_T0_DpT1_, .Lfunc_end37-_ZN2at6native12_GLOBAL__N_125multi_tensor_apply_kernelINS1_18TensorListMetadataILi2EEENS1_27BinaryOpScalarTensorFunctorIaLi2ELi1ELi1EEEJSt10multipliesIaEPaaEEEvT_T0_DpT1_
                                        ; -- End function
	.set _ZN2at6native12_GLOBAL__N_125multi_tensor_apply_kernelINS1_18TensorListMetadataILi2EEENS1_27BinaryOpScalarTensorFunctorIaLi2ELi1ELi1EEEJSt10multipliesIaEPaaEEEvT_T0_DpT1_.num_vgpr, 29
	.set _ZN2at6native12_GLOBAL__N_125multi_tensor_apply_kernelINS1_18TensorListMetadataILi2EEENS1_27BinaryOpScalarTensorFunctorIaLi2ELi1ELi1EEEJSt10multipliesIaEPaaEEEvT_T0_DpT1_.num_agpr, 0
	.set _ZN2at6native12_GLOBAL__N_125multi_tensor_apply_kernelINS1_18TensorListMetadataILi2EEENS1_27BinaryOpScalarTensorFunctorIaLi2ELi1ELi1EEEJSt10multipliesIaEPaaEEEvT_T0_DpT1_.numbered_sgpr, 21
	.set _ZN2at6native12_GLOBAL__N_125multi_tensor_apply_kernelINS1_18TensorListMetadataILi2EEENS1_27BinaryOpScalarTensorFunctorIaLi2ELi1ELi1EEEJSt10multipliesIaEPaaEEEvT_T0_DpT1_.num_named_barrier, 0
	.set _ZN2at6native12_GLOBAL__N_125multi_tensor_apply_kernelINS1_18TensorListMetadataILi2EEENS1_27BinaryOpScalarTensorFunctorIaLi2ELi1ELi1EEEJSt10multipliesIaEPaaEEEvT_T0_DpT1_.private_seg_size, 0
	.set _ZN2at6native12_GLOBAL__N_125multi_tensor_apply_kernelINS1_18TensorListMetadataILi2EEENS1_27BinaryOpScalarTensorFunctorIaLi2ELi1ELi1EEEJSt10multipliesIaEPaaEEEvT_T0_DpT1_.uses_vcc, 1
	.set _ZN2at6native12_GLOBAL__N_125multi_tensor_apply_kernelINS1_18TensorListMetadataILi2EEENS1_27BinaryOpScalarTensorFunctorIaLi2ELi1ELi1EEEJSt10multipliesIaEPaaEEEvT_T0_DpT1_.uses_flat_scratch, 0
	.set _ZN2at6native12_GLOBAL__N_125multi_tensor_apply_kernelINS1_18TensorListMetadataILi2EEENS1_27BinaryOpScalarTensorFunctorIaLi2ELi1ELi1EEEJSt10multipliesIaEPaaEEEvT_T0_DpT1_.has_dyn_sized_stack, 0
	.set _ZN2at6native12_GLOBAL__N_125multi_tensor_apply_kernelINS1_18TensorListMetadataILi2EEENS1_27BinaryOpScalarTensorFunctorIaLi2ELi1ELi1EEEJSt10multipliesIaEPaaEEEvT_T0_DpT1_.has_recursion, 0
	.set _ZN2at6native12_GLOBAL__N_125multi_tensor_apply_kernelINS1_18TensorListMetadataILi2EEENS1_27BinaryOpScalarTensorFunctorIaLi2ELi1ELi1EEEJSt10multipliesIaEPaaEEEvT_T0_DpT1_.has_indirect_call, 0
	.section	.AMDGPU.csdata,"",@progbits
; Kernel info:
; codeLenInByte = 1776
; TotalNumSgprs: 23
; NumVgprs: 29
; ScratchSize: 0
; MemoryBound: 0
; FloatMode: 240
; IeeeMode: 1
; LDSByteSize: 0 bytes/workgroup (compile time only)
; SGPRBlocks: 0
; VGPRBlocks: 3
; NumSGPRsForWavesPerEU: 23
; NumVGPRsForWavesPerEU: 29
; Occupancy: 16
; WaveLimiterHint : 0
; COMPUTE_PGM_RSRC2:SCRATCH_EN: 0
; COMPUTE_PGM_RSRC2:USER_SGPR: 2
; COMPUTE_PGM_RSRC2:TRAP_HANDLER: 0
; COMPUTE_PGM_RSRC2:TGID_X_EN: 1
; COMPUTE_PGM_RSRC2:TGID_Y_EN: 0
; COMPUTE_PGM_RSRC2:TGID_Z_EN: 0
; COMPUTE_PGM_RSRC2:TIDIG_COMP_CNT: 0
	.section	.text._ZN2at6native12_GLOBAL__N_125multi_tensor_apply_kernelINS1_18TensorListMetadataILi2EEENS1_27BinaryOpScalarTensorFunctorIiLi2ELi1ELi1EEEJSt10multipliesIiEPiiEEEvT_T0_DpT1_,"axG",@progbits,_ZN2at6native12_GLOBAL__N_125multi_tensor_apply_kernelINS1_18TensorListMetadataILi2EEENS1_27BinaryOpScalarTensorFunctorIiLi2ELi1ELi1EEEJSt10multipliesIiEPiiEEEvT_T0_DpT1_,comdat
	.globl	_ZN2at6native12_GLOBAL__N_125multi_tensor_apply_kernelINS1_18TensorListMetadataILi2EEENS1_27BinaryOpScalarTensorFunctorIiLi2ELi1ELi1EEEJSt10multipliesIiEPiiEEEvT_T0_DpT1_ ; -- Begin function _ZN2at6native12_GLOBAL__N_125multi_tensor_apply_kernelINS1_18TensorListMetadataILi2EEENS1_27BinaryOpScalarTensorFunctorIiLi2ELi1ELi1EEEJSt10multipliesIiEPiiEEEvT_T0_DpT1_
	.p2align	8
	.type	_ZN2at6native12_GLOBAL__N_125multi_tensor_apply_kernelINS1_18TensorListMetadataILi2EEENS1_27BinaryOpScalarTensorFunctorIiLi2ELi1ELi1EEEJSt10multipliesIiEPiiEEEvT_T0_DpT1_,@function
_ZN2at6native12_GLOBAL__N_125multi_tensor_apply_kernelINS1_18TensorListMetadataILi2EEENS1_27BinaryOpScalarTensorFunctorIiLi2ELi1ELi1EEEJSt10multipliesIiEPiiEEEvT_T0_DpT1_: ; @_ZN2at6native12_GLOBAL__N_125multi_tensor_apply_kernelINS1_18TensorListMetadataILi2EEENS1_27BinaryOpScalarTensorFunctorIiLi2ELi1ELi1EEEJSt10multipliesIiEPiiEEEvT_T0_DpT1_
; %bb.0:
	s_mov_b32 s2, ttmp9
	s_mov_b32 s3, 0
	s_delay_alu instid0(SALU_CYCLE_1)
	s_mul_u64 s[4:5], s[2:3], 3
	s_add_nc_u64 s[6:7], s[0:1], s[2:3]
	s_mov_b32 s15, s3
	s_add_nc_u64 s[4:5], s[6:7], s[4:5]
	s_clause 0x1
	s_load_b32 s10, s[4:5], 0x740
	s_load_u8 s2, s[0:1], ttmp9 offset:0x600
	s_mov_b32 s21, s3
	s_wait_kmcnt 0x0
	s_ashr_i32 s11, s10, 31
	s_lshl_b32 s2, s2, 3
	s_clause 0x3
	s_load_b64 s[16:17], s[0:1], s2 offset:0x0
	s_load_b64 s[18:19], s[0:1], s2 offset:0x200
	;; [unrolled: 1-line block ×3, first 2 shown]
	s_load_b96 s[4:6], s[0:1], 0xc50
	s_lshl_b64 s[8:9], s[10:11], 18
	s_lshl_b64 s[10:11], s[10:11], 16
	s_wait_kmcnt 0x0
	s_add_nc_u64 s[22:23], s[16:17], s[8:9]
	s_and_b32 s14, s18, 15
	s_and_b32 s20, s12, 3
	;; [unrolled: 1-line block ×3, first 2 shown]
	s_or_b64 s[14:15], s[14:15], s[20:21]
	s_delay_alu instid0(SALU_CYCLE_1)
	s_or_b64 s[2:3], s[14:15], s[2:3]
	s_sub_nc_u64 s[14:15], s[12:13], s[10:11]
	s_cmp_eq_u64 s[2:3], 0
	s_mov_b32 s2, -1
	s_cbranch_scc0 .LBB38_5
; %bb.1:
	v_cmp_gt_i64_e64 s2, 0x10000, s[14:15]
	v_dual_mov_b32 v2, 0 :: v_dual_lshlrev_b32 v1, 2, v0
	s_mov_b32 s3, exec_lo
	s_and_b32 s2, s2, exec_lo
	s_cselect_b32 s11, s15, 0
	s_cselect_b32 s10, s14, 0x10000
	s_delay_alu instid0(SALU_CYCLE_1)
	v_cmpx_gt_i64_e64 s[10:11], v[1:2]
	s_cbranch_execz .LBB38_4
; %bb.2:
	s_load_b32 s2, s[0:1], 0xc6c
	v_lshlrev_b32_e32 v3, 4, v0
	v_mov_b32_e32 v1, v2
	s_mov_b32 s12, 0
	s_delay_alu instid0(VALU_DEP_2) | instskip(NEXT) | instid1(VALU_DEP_1)
	v_add_co_u32 v5, s7, s8, v3
	v_add_co_ci_u32_e64 v6, null, s9, 0, s7
	s_delay_alu instid0(VALU_DEP_3)
	v_dual_mov_b32 v4, v1 :: v_dual_mov_b32 v3, v0
	s_wait_kmcnt 0x0
	s_and_b32 s7, s2, 0xffff
	s_wait_alu 0xfffe
	s_lshl_b32 s13, s7, 4
.LBB38_3:                               ; =>This Inner Loop Header: Depth=1
	global_load_b32 v1, v2, s[4:5]
	v_add_co_u32 v7, vcc_lo, s16, v5
	s_wait_alu 0xfffd
	v_add_co_ci_u32_e64 v8, null, s17, v6, vcc_lo
	v_add_co_u32 v3, vcc_lo, v3, s7
	s_wait_alu 0xfffd
	v_add_co_ci_u32_e64 v4, null, 0, v4, vcc_lo
	global_load_b128 v[7:10], v[7:8], off
	v_add_co_u32 v11, vcc_lo, s18, v5
	v_lshlrev_b64_e32 v[13:14], 2, v[3:4]
	s_wait_alu 0xfffd
	v_add_co_ci_u32_e64 v12, null, s19, v6, vcc_lo
	v_add_co_u32 v5, s2, v5, s13
	s_wait_alu 0xf1ff
	v_add_co_ci_u32_e64 v6, null, 0, v6, s2
	v_cmp_le_i64_e32 vcc_lo, s[10:11], v[13:14]
	s_or_b32 s12, vcc_lo, s12
	s_wait_loadcnt 0x1
	v_mul_lo_u32 v1, v1, s6
	s_wait_loadcnt 0x0
	s_delay_alu instid0(VALU_DEP_1)
	v_mul_lo_u32 v7, v1, v7
	v_mul_lo_u32 v8, v1, v8
	;; [unrolled: 1-line block ×4, first 2 shown]
	global_store_b128 v[11:12], v[7:10], off
	s_wait_alu 0xfffe
	s_and_not1_b32 exec_lo, exec_lo, s12
	s_cbranch_execnz .LBB38_3
.LBB38_4:
	s_or_b32 exec_lo, exec_lo, s3
	s_mov_b32 s2, 0
.LBB38_5:
	s_wait_alu 0xfffe
	s_and_not1_b32 vcc_lo, exec_lo, s2
	s_wait_alu 0xfffe
	s_cbranch_vccnz .LBB38_25
; %bb.6:
	v_cmp_lt_i64_e64 s2, s[14:15], 1
	s_and_b32 vcc_lo, exec_lo, s2
	s_wait_alu 0xfffe
	s_cbranch_vccnz .LBB38_25
; %bb.7:
	s_load_b32 s0, s[0:1], 0xc6c
	v_cmp_gt_i64_e64 s1, 0x10000, s[14:15]
	v_dual_mov_b32 v2, 0 :: v_dual_lshlrev_b32 v1, 2, v0
	v_cmp_gt_u64_e64 s2, 0x10000, s[14:15]
	s_mov_b32 s11, 0
	s_and_b32 s1, s1, exec_lo
	v_add_co_u32 v5, s1, s18, v1
	v_add_co_u32 v3, s3, s16, v1
	s_cselect_b32 s13, s15, 0
	s_cselect_b32 s12, s14, 0x10000
	v_add_co_ci_u32_e64 v6, null, s19, 0, s1
	v_add_co_ci_u32_e64 v4, null, s17, 0, s3
	s_wait_kmcnt 0x0
	s_and_b32 s0, s0, 0xffff
	s_and_b32 s1, s2, exec_lo
	s_cselect_b32 s15, s15, 0
	s_cselect_b32 s14, s14, 0x10000
	s_wait_alu 0xfffe
	s_mul_i32 s2, s0, 3
	s_lshl_b32 s3, s0, 3
	v_mad_co_u64_u32 v[9:10], null, s0, 12, v[1:2]
	s_wait_alu 0xfffe
	v_add_co_u32 v15, s3, s3, v1
	v_add_co_u32 v1, s2, s2, v0
	s_wait_alu 0xf1ff
	v_add_co_ci_u32_e64 v11, null, 0, 0, s2
	v_add_co_u32 v14, s2, v0, s0
	s_lshl_b32 s1, s0, 1
	v_add_co_u32 v7, vcc_lo, s16, v9
	v_lshlrev_b32_e32 v22, 2, v14
	v_add_co_ci_u32_e64 v16, null, 0, 0, s3
	s_wait_alu 0xfffd
	v_add_co_ci_u32_e64 v8, null, s17, v10, vcc_lo
	v_add_co_u32 v9, vcc_lo, s18, v9
	s_wait_alu 0xfffe
	v_add_co_u32 v18, s1, s1, v0
	s_wait_alu 0xfffd
	v_add_co_ci_u32_e64 v10, null, s19, v10, vcc_lo
	v_add_co_u32 v12, vcc_lo, s16, v15
	s_wait_alu 0xf1ff
	v_add_co_ci_u32_e64 v19, null, 0, 0, s1
	v_add_co_u32 v20, s1, s16, v22
	s_wait_alu 0xfffd
	v_add_co_ci_u32_e64 v13, null, s17, v16, vcc_lo
	v_add_co_u32 v15, vcc_lo, s18, v15
	s_wait_alu 0xf1ff
	v_add_co_ci_u32_e64 v21, null, s17, 0, s1
	v_add_co_u32 v22, s1, s18, v22
	s_wait_alu 0xfffd
	v_add_co_ci_u32_e64 v16, null, s19, v16, vcc_lo
	v_add_co_ci_u32_e64 v17, null, 0, 0, s2
	s_wait_alu 0xf1ff
	v_add_co_ci_u32_e64 v23, null, s19, 0, s1
	s_lshl_b32 s10, s0, 2
	s_lshl_b32 s7, s0, 4
	s_mov_b64 s[16:17], 0
	s_branch .LBB38_9
.LBB38_8:                               ;   in Loop: Header=BB38_9 Depth=1
	s_wait_alu 0xfffe
	s_or_b32 exec_lo, exec_lo, s0
	v_add_co_u32 v3, vcc_lo, v3, s7
	s_wait_alu 0xfffd
	v_add_co_ci_u32_e64 v4, null, 0, v4, vcc_lo
	v_add_co_u32 v5, vcc_lo, v5, s7
	s_wait_alu 0xfffd
	v_add_co_ci_u32_e64 v6, null, 0, v6, vcc_lo
	;; [unrolled: 3-line block ×5, first 2 shown]
	v_add_co_u32 v15, vcc_lo, v15, s7
	s_add_nc_u64 s[16:17], s[16:17], s[10:11]
	s_wait_alu 0xfffd
	v_add_co_ci_u32_e64 v16, null, 0, v16, vcc_lo
	v_add_co_u32 v20, vcc_lo, v20, s7
	s_wait_alu 0xfffe
	v_cmp_ge_i64_e64 s0, s[16:17], s[12:13]
	s_wait_alu 0xfffd
	v_add_co_ci_u32_e64 v21, null, 0, v21, vcc_lo
	v_add_co_u32 v22, vcc_lo, v22, s7
	s_wait_alu 0xfffd
	v_add_co_ci_u32_e64 v23, null, 0, v23, vcc_lo
	s_and_b32 vcc_lo, exec_lo, s0
	s_wait_alu 0xfffe
	s_cbranch_vccnz .LBB38_25
.LBB38_9:                               ; =>This Inner Loop Header: Depth=1
	s_wait_alu 0xfffe
	v_add_co_u32 v24, s0, v0, s16
	s_wait_alu 0xf1ff
	v_add_co_ci_u32_e64 v25, null, 0, s17, s0
	s_delay_alu instid0(VALU_DEP_1)
	v_cmp_gt_u64_e32 vcc_lo, s[14:15], v[24:25]
	v_mov_b32_e32 v25, 0
	s_and_saveexec_b32 s1, vcc_lo
	s_cbranch_execz .LBB38_11
; %bb.10:                               ;   in Loop: Header=BB38_9 Depth=1
	v_add_co_u32 v24, s0, v3, s8
	s_wait_alu 0xf1ff
	v_add_co_ci_u32_e64 v25, null, s9, v4, s0
	global_load_b32 v25, v[24:25], off
.LBB38_11:                              ;   in Loop: Header=BB38_9 Depth=1
	s_wait_alu 0xfffe
	s_or_b32 exec_lo, exec_lo, s1
	v_add_co_u32 v26, s0, v14, s16
	s_wait_alu 0xf1ff
	v_add_co_ci_u32_e64 v27, null, s17, v17, s0
	v_mov_b32_e32 v24, 0
	s_delay_alu instid0(VALU_DEP_2)
	v_cmp_gt_u64_e64 s0, s[14:15], v[26:27]
	v_mov_b32_e32 v26, 0
	s_and_saveexec_b32 s2, s0
	s_cbranch_execz .LBB38_13
; %bb.12:                               ;   in Loop: Header=BB38_9 Depth=1
	v_add_co_u32 v26, s1, v20, s8
	s_wait_alu 0xf1ff
	v_add_co_ci_u32_e64 v27, null, s9, v21, s1
	global_load_b32 v26, v[26:27], off
.LBB38_13:                              ;   in Loop: Header=BB38_9 Depth=1
	s_wait_alu 0xfffe
	s_or_b32 exec_lo, exec_lo, s2
	v_add_co_u32 v27, s1, v18, s16
	s_wait_alu 0xf1ff
	v_add_co_ci_u32_e64 v28, null, s17, v19, s1
	s_delay_alu instid0(VALU_DEP_1)
	v_cmp_gt_u64_e64 s1, s[14:15], v[27:28]
	s_and_saveexec_b32 s3, s1
	s_cbranch_execz .LBB38_15
; %bb.14:                               ;   in Loop: Header=BB38_9 Depth=1
	v_add_co_u32 v27, s2, v12, s8
	s_wait_alu 0xf1ff
	v_add_co_ci_u32_e64 v28, null, s9, v13, s2
	global_load_b32 v24, v[27:28], off
.LBB38_15:                              ;   in Loop: Header=BB38_9 Depth=1
	s_wait_alu 0xfffe
	s_or_b32 exec_lo, exec_lo, s3
	v_add_co_u32 v27, s2, v1, s16
	s_wait_alu 0xf1ff
	v_add_co_ci_u32_e64 v28, null, s17, v11, s2
	s_delay_alu instid0(VALU_DEP_1)
	v_cmp_gt_u64_e64 s2, s[14:15], v[27:28]
	v_mov_b32_e32 v27, 0
	s_and_saveexec_b32 s18, s2
	s_cbranch_execz .LBB38_17
; %bb.16:                               ;   in Loop: Header=BB38_9 Depth=1
	v_add_co_u32 v27, s3, v7, s8
	s_wait_alu 0xf1ff
	v_add_co_ci_u32_e64 v28, null, s9, v8, s3
	global_load_b32 v27, v[27:28], off
.LBB38_17:                              ;   in Loop: Header=BB38_9 Depth=1
	s_wait_alu 0xfffe
	s_or_b32 exec_lo, exec_lo, s18
	global_load_b32 v28, v2, s[4:5]
	s_wait_loadcnt 0x0
	v_mul_lo_u32 v28, v28, s6
	s_and_saveexec_b32 s3, vcc_lo
	s_cbranch_execnz .LBB38_21
; %bb.18:                               ;   in Loop: Header=BB38_9 Depth=1
	s_wait_alu 0xfffe
	s_or_b32 exec_lo, exec_lo, s3
	s_and_saveexec_b32 s3, s0
	s_cbranch_execnz .LBB38_22
.LBB38_19:                              ;   in Loop: Header=BB38_9 Depth=1
	s_wait_alu 0xfffe
	s_or_b32 exec_lo, exec_lo, s3
	s_and_saveexec_b32 s0, s1
	s_cbranch_execnz .LBB38_23
.LBB38_20:                              ;   in Loop: Header=BB38_9 Depth=1
	s_wait_alu 0xfffe
	s_or_b32 exec_lo, exec_lo, s0
	s_and_saveexec_b32 s0, s2
	s_cbranch_execz .LBB38_8
	s_branch .LBB38_24
.LBB38_21:                              ;   in Loop: Header=BB38_9 Depth=1
	s_delay_alu instid0(VALU_DEP_1)
	v_mul_lo_u32 v25, v28, v25
	v_add_co_u32 v29, vcc_lo, v5, s8
	s_wait_alu 0xfffd
	v_add_co_ci_u32_e64 v30, null, s9, v6, vcc_lo
	global_store_b32 v[29:30], v25, off
	s_wait_alu 0xfffe
	s_or_b32 exec_lo, exec_lo, s3
	s_and_saveexec_b32 s3, s0
	s_cbranch_execz .LBB38_19
.LBB38_22:                              ;   in Loop: Header=BB38_9 Depth=1
	s_delay_alu instid0(VALU_DEP_1)
	v_mul_lo_u32 v29, v28, v26
	v_add_co_u32 v25, vcc_lo, v22, s8
	s_wait_alu 0xfffd
	v_add_co_ci_u32_e64 v26, null, s9, v23, vcc_lo
	global_store_b32 v[25:26], v29, off
	s_wait_alu 0xfffe
	s_or_b32 exec_lo, exec_lo, s3
	s_and_saveexec_b32 s0, s1
	s_cbranch_execz .LBB38_20
.LBB38_23:                              ;   in Loop: Header=BB38_9 Depth=1
	v_mul_lo_u32 v26, v28, v24
	v_add_co_u32 v24, vcc_lo, v15, s8
	s_wait_alu 0xfffd
	v_add_co_ci_u32_e64 v25, null, s9, v16, vcc_lo
	global_store_b32 v[24:25], v26, off
	s_wait_alu 0xfffe
	s_or_b32 exec_lo, exec_lo, s0
	s_and_saveexec_b32 s0, s2
	s_cbranch_execz .LBB38_8
.LBB38_24:                              ;   in Loop: Header=BB38_9 Depth=1
	v_mul_lo_u32 v26, v28, v27
	v_add_co_u32 v24, vcc_lo, v9, s8
	s_wait_alu 0xfffd
	v_add_co_ci_u32_e64 v25, null, s9, v10, vcc_lo
	global_store_b32 v[24:25], v26, off
	s_branch .LBB38_8
.LBB38_25:
	s_endpgm
	.section	.rodata,"a",@progbits
	.p2align	6, 0x0
	.amdhsa_kernel _ZN2at6native12_GLOBAL__N_125multi_tensor_apply_kernelINS1_18TensorListMetadataILi2EEENS1_27BinaryOpScalarTensorFunctorIiLi2ELi1ELi1EEEJSt10multipliesIiEPiiEEEvT_T0_DpT1_
		.amdhsa_group_segment_fixed_size 0
		.amdhsa_private_segment_fixed_size 0
		.amdhsa_kernarg_size 3424
		.amdhsa_user_sgpr_count 2
		.amdhsa_user_sgpr_dispatch_ptr 0
		.amdhsa_user_sgpr_queue_ptr 0
		.amdhsa_user_sgpr_kernarg_segment_ptr 1
		.amdhsa_user_sgpr_dispatch_id 0
		.amdhsa_user_sgpr_private_segment_size 0
		.amdhsa_wavefront_size32 1
		.amdhsa_uses_dynamic_stack 0
		.amdhsa_enable_private_segment 0
		.amdhsa_system_sgpr_workgroup_id_x 1
		.amdhsa_system_sgpr_workgroup_id_y 0
		.amdhsa_system_sgpr_workgroup_id_z 0
		.amdhsa_system_sgpr_workgroup_info 0
		.amdhsa_system_vgpr_workitem_id 0
		.amdhsa_next_free_vgpr 31
		.amdhsa_next_free_sgpr 24
		.amdhsa_reserve_vcc 1
		.amdhsa_float_round_mode_32 0
		.amdhsa_float_round_mode_16_64 0
		.amdhsa_float_denorm_mode_32 3
		.amdhsa_float_denorm_mode_16_64 3
		.amdhsa_fp16_overflow 0
		.amdhsa_workgroup_processor_mode 1
		.amdhsa_memory_ordered 1
		.amdhsa_forward_progress 1
		.amdhsa_inst_pref_size 14
		.amdhsa_round_robin_scheduling 0
		.amdhsa_exception_fp_ieee_invalid_op 0
		.amdhsa_exception_fp_denorm_src 0
		.amdhsa_exception_fp_ieee_div_zero 0
		.amdhsa_exception_fp_ieee_overflow 0
		.amdhsa_exception_fp_ieee_underflow 0
		.amdhsa_exception_fp_ieee_inexact 0
		.amdhsa_exception_int_div_zero 0
	.end_amdhsa_kernel
	.section	.text._ZN2at6native12_GLOBAL__N_125multi_tensor_apply_kernelINS1_18TensorListMetadataILi2EEENS1_27BinaryOpScalarTensorFunctorIiLi2ELi1ELi1EEEJSt10multipliesIiEPiiEEEvT_T0_DpT1_,"axG",@progbits,_ZN2at6native12_GLOBAL__N_125multi_tensor_apply_kernelINS1_18TensorListMetadataILi2EEENS1_27BinaryOpScalarTensorFunctorIiLi2ELi1ELi1EEEJSt10multipliesIiEPiiEEEvT_T0_DpT1_,comdat
.Lfunc_end38:
	.size	_ZN2at6native12_GLOBAL__N_125multi_tensor_apply_kernelINS1_18TensorListMetadataILi2EEENS1_27BinaryOpScalarTensorFunctorIiLi2ELi1ELi1EEEJSt10multipliesIiEPiiEEEvT_T0_DpT1_, .Lfunc_end38-_ZN2at6native12_GLOBAL__N_125multi_tensor_apply_kernelINS1_18TensorListMetadataILi2EEENS1_27BinaryOpScalarTensorFunctorIiLi2ELi1ELi1EEEJSt10multipliesIiEPiiEEEvT_T0_DpT1_
                                        ; -- End function
	.set _ZN2at6native12_GLOBAL__N_125multi_tensor_apply_kernelINS1_18TensorListMetadataILi2EEENS1_27BinaryOpScalarTensorFunctorIiLi2ELi1ELi1EEEJSt10multipliesIiEPiiEEEvT_T0_DpT1_.num_vgpr, 31
	.set _ZN2at6native12_GLOBAL__N_125multi_tensor_apply_kernelINS1_18TensorListMetadataILi2EEENS1_27BinaryOpScalarTensorFunctorIiLi2ELi1ELi1EEEJSt10multipliesIiEPiiEEEvT_T0_DpT1_.num_agpr, 0
	.set _ZN2at6native12_GLOBAL__N_125multi_tensor_apply_kernelINS1_18TensorListMetadataILi2EEENS1_27BinaryOpScalarTensorFunctorIiLi2ELi1ELi1EEEJSt10multipliesIiEPiiEEEvT_T0_DpT1_.numbered_sgpr, 24
	.set _ZN2at6native12_GLOBAL__N_125multi_tensor_apply_kernelINS1_18TensorListMetadataILi2EEENS1_27BinaryOpScalarTensorFunctorIiLi2ELi1ELi1EEEJSt10multipliesIiEPiiEEEvT_T0_DpT1_.num_named_barrier, 0
	.set _ZN2at6native12_GLOBAL__N_125multi_tensor_apply_kernelINS1_18TensorListMetadataILi2EEENS1_27BinaryOpScalarTensorFunctorIiLi2ELi1ELi1EEEJSt10multipliesIiEPiiEEEvT_T0_DpT1_.private_seg_size, 0
	.set _ZN2at6native12_GLOBAL__N_125multi_tensor_apply_kernelINS1_18TensorListMetadataILi2EEENS1_27BinaryOpScalarTensorFunctorIiLi2ELi1ELi1EEEJSt10multipliesIiEPiiEEEvT_T0_DpT1_.uses_vcc, 1
	.set _ZN2at6native12_GLOBAL__N_125multi_tensor_apply_kernelINS1_18TensorListMetadataILi2EEENS1_27BinaryOpScalarTensorFunctorIiLi2ELi1ELi1EEEJSt10multipliesIiEPiiEEEvT_T0_DpT1_.uses_flat_scratch, 0
	.set _ZN2at6native12_GLOBAL__N_125multi_tensor_apply_kernelINS1_18TensorListMetadataILi2EEENS1_27BinaryOpScalarTensorFunctorIiLi2ELi1ELi1EEEJSt10multipliesIiEPiiEEEvT_T0_DpT1_.has_dyn_sized_stack, 0
	.set _ZN2at6native12_GLOBAL__N_125multi_tensor_apply_kernelINS1_18TensorListMetadataILi2EEENS1_27BinaryOpScalarTensorFunctorIiLi2ELi1ELi1EEEJSt10multipliesIiEPiiEEEvT_T0_DpT1_.has_recursion, 0
	.set _ZN2at6native12_GLOBAL__N_125multi_tensor_apply_kernelINS1_18TensorListMetadataILi2EEENS1_27BinaryOpScalarTensorFunctorIiLi2ELi1ELi1EEEJSt10multipliesIiEPiiEEEvT_T0_DpT1_.has_indirect_call, 0
	.section	.AMDGPU.csdata,"",@progbits
; Kernel info:
; codeLenInByte = 1724
; TotalNumSgprs: 26
; NumVgprs: 31
; ScratchSize: 0
; MemoryBound: 0
; FloatMode: 240
; IeeeMode: 1
; LDSByteSize: 0 bytes/workgroup (compile time only)
; SGPRBlocks: 0
; VGPRBlocks: 3
; NumSGPRsForWavesPerEU: 26
; NumVGPRsForWavesPerEU: 31
; Occupancy: 16
; WaveLimiterHint : 0
; COMPUTE_PGM_RSRC2:SCRATCH_EN: 0
; COMPUTE_PGM_RSRC2:USER_SGPR: 2
; COMPUTE_PGM_RSRC2:TRAP_HANDLER: 0
; COMPUTE_PGM_RSRC2:TGID_X_EN: 1
; COMPUTE_PGM_RSRC2:TGID_Y_EN: 0
; COMPUTE_PGM_RSRC2:TGID_Z_EN: 0
; COMPUTE_PGM_RSRC2:TIDIG_COMP_CNT: 0
	.section	.text._ZN2at6native12_GLOBAL__N_125multi_tensor_apply_kernelINS1_18TensorListMetadataILi2EEENS1_27BinaryOpScalarTensorFunctorIlLi2ELi1ELi1EEEJSt10multipliesIlEPllEEEvT_T0_DpT1_,"axG",@progbits,_ZN2at6native12_GLOBAL__N_125multi_tensor_apply_kernelINS1_18TensorListMetadataILi2EEENS1_27BinaryOpScalarTensorFunctorIlLi2ELi1ELi1EEEJSt10multipliesIlEPllEEEvT_T0_DpT1_,comdat
	.globl	_ZN2at6native12_GLOBAL__N_125multi_tensor_apply_kernelINS1_18TensorListMetadataILi2EEENS1_27BinaryOpScalarTensorFunctorIlLi2ELi1ELi1EEEJSt10multipliesIlEPllEEEvT_T0_DpT1_ ; -- Begin function _ZN2at6native12_GLOBAL__N_125multi_tensor_apply_kernelINS1_18TensorListMetadataILi2EEENS1_27BinaryOpScalarTensorFunctorIlLi2ELi1ELi1EEEJSt10multipliesIlEPllEEEvT_T0_DpT1_
	.p2align	8
	.type	_ZN2at6native12_GLOBAL__N_125multi_tensor_apply_kernelINS1_18TensorListMetadataILi2EEENS1_27BinaryOpScalarTensorFunctorIlLi2ELi1ELi1EEEJSt10multipliesIlEPllEEEvT_T0_DpT1_,@function
_ZN2at6native12_GLOBAL__N_125multi_tensor_apply_kernelINS1_18TensorListMetadataILi2EEENS1_27BinaryOpScalarTensorFunctorIlLi2ELi1ELi1EEEJSt10multipliesIlEPllEEEvT_T0_DpT1_: ; @_ZN2at6native12_GLOBAL__N_125multi_tensor_apply_kernelINS1_18TensorListMetadataILi2EEENS1_27BinaryOpScalarTensorFunctorIlLi2ELi1ELi1EEEJSt10multipliesIlEPllEEEvT_T0_DpT1_
; %bb.0:
	s_mov_b32 s2, ttmp9
	s_mov_b32 s3, 0
	s_delay_alu instid0(SALU_CYCLE_1)
	s_mul_u64 s[4:5], s[2:3], 3
	s_add_nc_u64 s[6:7], s[0:1], s[2:3]
	s_mov_b32 s15, s3
	s_add_nc_u64 s[4:5], s[6:7], s[4:5]
	s_clause 0x1
	s_load_b32 s10, s[4:5], 0x740
	s_load_u8 s2, s[0:1], ttmp9 offset:0x600
	s_mov_b32 s21, s3
	s_wait_kmcnt 0x0
	s_ashr_i32 s11, s10, 31
	s_lshl_b32 s2, s2, 3
	s_clause 0x3
	s_load_b64 s[16:17], s[0:1], s2 offset:0x0
	s_load_b64 s[18:19], s[0:1], s2 offset:0x200
	s_load_b64 s[12:13], s[0:1], s2 offset:0x400
	s_load_b128 s[4:7], s[0:1], 0xc50
	s_lshl_b64 s[8:9], s[10:11], 19
	s_lshl_b64 s[10:11], s[10:11], 16
	s_wait_kmcnt 0x0
	s_add_nc_u64 s[22:23], s[16:17], s[8:9]
	s_and_b32 s14, s18, 31
	s_and_b32 s20, s12, 3
	;; [unrolled: 1-line block ×3, first 2 shown]
	s_or_b64 s[14:15], s[14:15], s[20:21]
	s_delay_alu instid0(SALU_CYCLE_1)
	s_or_b64 s[2:3], s[14:15], s[2:3]
	s_sub_nc_u64 s[14:15], s[12:13], s[10:11]
	s_cmp_eq_u64 s[2:3], 0
	s_mov_b32 s2, -1
	s_cbranch_scc0 .LBB39_5
; %bb.1:
	v_cmp_gt_i64_e64 s2, 0x10000, s[14:15]
	v_dual_mov_b32 v2, 0 :: v_dual_lshlrev_b32 v1, 2, v0
	s_mov_b32 s3, exec_lo
	s_and_b32 s2, s2, exec_lo
	s_cselect_b32 s11, s15, 0
	s_cselect_b32 s10, s14, 0x10000
	s_delay_alu instid0(SALU_CYCLE_1)
	v_cmpx_gt_i64_e64 s[10:11], v[1:2]
	s_cbranch_execz .LBB39_4
; %bb.2:
	s_load_b32 s2, s[0:1], 0xc6c
	v_lshlrev_b32_e32 v3, 5, v0
	v_mov_b32_e32 v1, v2
	s_mov_b32 s13, 0
	s_delay_alu instid0(VALU_DEP_2) | instskip(NEXT) | instid1(VALU_DEP_1)
	v_add_co_u32 v5, s12, s8, v3
	v_add_co_ci_u32_e64 v6, null, s9, 0, s12
	s_delay_alu instid0(VALU_DEP_3)
	v_dual_mov_b32 v4, v1 :: v_dual_mov_b32 v3, v0
	s_wait_kmcnt 0x0
	s_and_b32 s12, s2, 0xffff
	s_wait_alu 0xfffe
	s_lshl_b32 s20, s12, 5
.LBB39_3:                               ; =>This Inner Loop Header: Depth=1
	global_load_b64 v[15:16], v2, s[4:5]
	v_add_co_u32 v11, vcc_lo, s16, v5
	s_wait_alu 0xfffd
	v_add_co_ci_u32_e64 v12, null, s17, v6, vcc_lo
	v_add_co_u32 v3, vcc_lo, v3, s12
	s_clause 0x1
	global_load_b128 v[7:10], v[11:12], off
	global_load_b128 v[11:14], v[11:12], off offset:16
	s_wait_alu 0xfffd
	v_add_co_ci_u32_e64 v4, null, 0, v4, vcc_lo
	v_add_co_u32 v23, vcc_lo, s18, v5
	s_wait_alu 0xfffd
	v_add_co_ci_u32_e64 v24, null, s19, v6, vcc_lo
	s_delay_alu instid0(VALU_DEP_3) | instskip(SKIP_3) | instid1(VALU_DEP_3)
	v_lshlrev_b64_e32 v[25:26], 2, v[3:4]
	v_add_co_u32 v5, vcc_lo, v5, s20
	s_wait_alu 0xfffd
	v_add_co_ci_u32_e64 v6, null, 0, v6, vcc_lo
	v_cmp_le_i64_e64 s2, s[10:11], v[25:26]
	s_or_b32 s13, s2, s13
	s_wait_loadcnt 0x2
	v_mul_lo_u32 v1, s6, v16
	v_mul_lo_u32 v16, s7, v15
	v_mul_hi_u32 v27, s6, v15
	v_mul_lo_u32 v21, s6, v15
	s_delay_alu instid0(VALU_DEP_3) | instskip(SKIP_1) | instid1(VALU_DEP_2)
	v_add_nc_u32_e32 v1, v1, v16
	s_wait_loadcnt 0x1
	v_mul_lo_u32 v8, v21, v8
	v_mad_co_u64_u32 v[15:16], null, v21, v7, 0
	s_delay_alu instid0(VALU_DEP_3)
	v_add_nc_u32_e32 v1, v1, v27
	v_mul_lo_u32 v10, v21, v10
	v_mad_co_u64_u32 v[17:18], null, v21, v9, 0
	s_wait_loadcnt 0x0
	v_mul_lo_u32 v12, v21, v12
	v_mul_lo_u32 v7, v1, v7
	;; [unrolled: 1-line block ×3, first 2 shown]
	v_mad_co_u64_u32 v[19:20], null, v21, v11, 0
	v_mul_lo_u32 v14, v21, v14
	v_mad_co_u64_u32 v[21:22], null, v21, v13, 0
	v_mul_lo_u32 v11, v1, v11
	v_mul_lo_u32 v1, v1, v13
	v_add3_u32 v16, v16, v8, v7
	v_add3_u32 v18, v18, v10, v9
	s_delay_alu instid0(VALU_DEP_4) | instskip(NEXT) | instid1(VALU_DEP_4)
	v_add3_u32 v20, v20, v12, v11
	v_add3_u32 v22, v22, v14, v1
	s_clause 0x1
	global_store_b128 v[23:24], v[15:18], off
	global_store_b128 v[23:24], v[19:22], off offset:16
	s_wait_alu 0xfffe
	s_and_not1_b32 exec_lo, exec_lo, s13
	s_cbranch_execnz .LBB39_3
.LBB39_4:
	s_or_b32 exec_lo, exec_lo, s3
	s_mov_b32 s2, 0
.LBB39_5:
	s_delay_alu instid0(SALU_CYCLE_1)
	s_and_not1_b32 vcc_lo, exec_lo, s2
	s_wait_alu 0xfffe
	s_cbranch_vccnz .LBB39_25
; %bb.6:
	v_cmp_lt_i64_e64 s2, s[14:15], 1
	s_and_b32 vcc_lo, exec_lo, s2
	s_wait_alu 0xfffe
	s_cbranch_vccnz .LBB39_25
; %bb.7:
	s_load_b32 s0, s[0:1], 0xc6c
	v_cmp_gt_i64_e64 s1, 0x10000, s[14:15]
	v_dual_mov_b32 v2, 0 :: v_dual_lshlrev_b32 v1, 3, v0
	v_cmp_gt_u64_e64 s2, 0x10000, s[14:15]
	s_mov_b32 s11, 0
	s_and_b32 s1, s1, exec_lo
	s_cselect_b32 s13, s15, 0
	s_cselect_b32 s12, s14, 0x10000
	v_add_co_u32 v13, s1, s18, v1
	v_add_co_u32 v11, s3, s16, v1
	v_add_co_ci_u32_e64 v14, null, s19, 0, s1
	v_add_co_ci_u32_e64 v12, null, s17, 0, s3
	s_wait_kmcnt 0x0
	s_and_b32 s0, s0, 0xffff
	s_and_b32 s1, s2, exec_lo
	s_wait_alu 0xfffe
	v_mad_co_u64_u32 v[3:4], null, s0, 24, v[1:2]
	s_cselect_b32 s15, s15, 0
	s_cselect_b32 s14, s14, 0x10000
	s_mul_i32 s2, s0, 3
	s_lshl_b32 s3, s0, 4
	s_lshl_b32 s1, s0, 1
	;; [unrolled: 1-line block ×3, first 2 shown]
	v_add_co_u32 v15, vcc_lo, s16, v3
	s_wait_alu 0xfffd
	v_add_co_ci_u32_e64 v16, null, s17, v4, vcc_lo
	v_add_co_u32 v17, vcc_lo, s18, v3
	s_wait_alu 0xfffe
	v_add_co_u32 v3, s3, s3, v1
	v_add_co_u32 v1, s2, s2, v0
	s_wait_alu 0xfffd
	v_add_co_ci_u32_e64 v18, null, s19, v4, vcc_lo
	s_wait_alu 0xf1ff
	v_add_co_ci_u32_e64 v4, null, 0, 0, s3
	v_add_co_ci_u32_e64 v19, null, 0, 0, s2
	v_add_co_u32 v22, s2, v0, s0
	v_add_co_u32 v20, vcc_lo, s16, v3
	s_wait_alu 0xfffd
	v_add_co_ci_u32_e64 v21, null, s17, v4, vcc_lo
	v_add_co_u32 v23, vcc_lo, s18, v3
	v_lshlrev_b32_e32 v3, 3, v22
	v_add_co_u32 v26, s1, s1, v0
	s_wait_alu 0xf1ff
	v_add_co_ci_u32_e64 v27, null, 0, 0, s1
	s_delay_alu instid0(VALU_DEP_3)
	v_add_co_u32 v28, s1, s16, v3
	s_wait_alu 0xf1ff
	v_add_co_ci_u32_e64 v29, null, s17, 0, s1
	v_add_co_u32 v30, s1, s18, v3
	s_wait_alu 0xfffd
	v_add_co_ci_u32_e64 v24, null, s19, v4, vcc_lo
	v_add_co_ci_u32_e64 v25, null, 0, 0, s2
	s_wait_alu 0xf1ff
	v_add_co_ci_u32_e64 v31, null, s19, 0, s1
	s_lshl_b32 s18, s0, 5
	s_mov_b64 s[16:17], 0
	s_branch .LBB39_9
.LBB39_8:                               ;   in Loop: Header=BB39_9 Depth=1
	s_wait_alu 0xfffe
	s_or_b32 exec_lo, exec_lo, s0
	v_add_co_u32 v11, vcc_lo, v11, s18
	s_wait_alu 0xfffd
	v_add_co_ci_u32_e64 v12, null, 0, v12, vcc_lo
	v_add_co_u32 v13, vcc_lo, v13, s18
	s_wait_alu 0xfffd
	v_add_co_ci_u32_e64 v14, null, 0, v14, vcc_lo
	;; [unrolled: 3-line block ×5, first 2 shown]
	v_add_co_u32 v23, vcc_lo, v23, s18
	s_add_nc_u64 s[16:17], s[16:17], s[10:11]
	s_wait_alu 0xfffd
	v_add_co_ci_u32_e64 v24, null, 0, v24, vcc_lo
	v_add_co_u32 v28, vcc_lo, v28, s18
	s_wait_alu 0xfffe
	v_cmp_ge_i64_e64 s0, s[16:17], s[12:13]
	s_wait_alu 0xfffd
	v_add_co_ci_u32_e64 v29, null, 0, v29, vcc_lo
	v_add_co_u32 v30, vcc_lo, v30, s18
	s_wait_alu 0xfffd
	v_add_co_ci_u32_e64 v31, null, 0, v31, vcc_lo
	s_and_b32 vcc_lo, exec_lo, s0
	s_wait_alu 0xfffe
	s_cbranch_vccnz .LBB39_25
.LBB39_9:                               ; =>This Inner Loop Header: Depth=1
	s_wait_alu 0xfffe
	v_add_co_u32 v5, s0, v0, s16
	s_wait_alu 0xf1ff
	v_add_co_ci_u32_e64 v6, null, 0, s17, s0
	v_mov_b32_e32 v3, 0
	v_dual_mov_b32 v4, 0 :: v_dual_mov_b32 v7, 0
	s_delay_alu instid0(VALU_DEP_3)
	v_cmp_gt_u64_e32 vcc_lo, s[14:15], v[5:6]
	v_mov_b32_e32 v8, 0
	s_and_saveexec_b32 s1, vcc_lo
	s_cbranch_execz .LBB39_11
; %bb.10:                               ;   in Loop: Header=BB39_9 Depth=1
	v_add_co_u32 v5, s0, v11, s8
	s_wait_alu 0xf1ff
	v_add_co_ci_u32_e64 v6, null, s9, v12, s0
	global_load_b64 v[7:8], v[5:6], off
.LBB39_11:                              ;   in Loop: Header=BB39_9 Depth=1
	s_wait_alu 0xfffe
	s_or_b32 exec_lo, exec_lo, s1
	v_add_co_u32 v5, s0, v22, s16
	s_wait_alu 0xf1ff
	v_add_co_ci_u32_e64 v6, null, s17, v25, s0
	s_delay_alu instid0(VALU_DEP_1)
	v_cmp_gt_u64_e64 s0, s[14:15], v[5:6]
	s_and_saveexec_b32 s2, s0
	s_cbranch_execz .LBB39_13
; %bb.12:                               ;   in Loop: Header=BB39_9 Depth=1
	v_add_co_u32 v3, s1, v28, s8
	s_wait_alu 0xf1ff
	v_add_co_ci_u32_e64 v4, null, s9, v29, s1
	global_load_b64 v[3:4], v[3:4], off
.LBB39_13:                              ;   in Loop: Header=BB39_9 Depth=1
	s_wait_alu 0xfffe
	s_or_b32 exec_lo, exec_lo, s2
	v_add_co_u32 v9, s1, v26, s16
	s_wait_alu 0xf1ff
	v_add_co_ci_u32_e64 v10, null, s17, v27, s1
	v_mov_b32_e32 v5, 0
	v_mov_b32_e32 v6, 0
	s_delay_alu instid0(VALU_DEP_3)
	v_cmp_gt_u64_e64 s1, s[14:15], v[9:10]
	v_mov_b32_e32 v9, 0
	v_mov_b32_e32 v10, 0
	s_and_saveexec_b32 s3, s1
	s_cbranch_execz .LBB39_15
; %bb.14:                               ;   in Loop: Header=BB39_9 Depth=1
	v_add_co_u32 v9, s2, v20, s8
	s_wait_alu 0xf1ff
	v_add_co_ci_u32_e64 v10, null, s9, v21, s2
	global_load_b64 v[9:10], v[9:10], off
.LBB39_15:                              ;   in Loop: Header=BB39_9 Depth=1
	s_wait_alu 0xfffe
	s_or_b32 exec_lo, exec_lo, s3
	v_add_co_u32 v32, s2, v1, s16
	s_wait_alu 0xf1ff
	v_add_co_ci_u32_e64 v33, null, s17, v19, s2
	s_delay_alu instid0(VALU_DEP_1)
	v_cmp_gt_u64_e64 s2, s[14:15], v[32:33]
	s_and_saveexec_b32 s19, s2
	s_cbranch_execz .LBB39_17
; %bb.16:                               ;   in Loop: Header=BB39_9 Depth=1
	v_add_co_u32 v5, s3, v15, s8
	s_wait_alu 0xf1ff
	v_add_co_ci_u32_e64 v6, null, s9, v16, s3
	global_load_b64 v[5:6], v[5:6], off
.LBB39_17:                              ;   in Loop: Header=BB39_9 Depth=1
	s_wait_alu 0xfffe
	s_or_b32 exec_lo, exec_lo, s19
	global_load_b64 v[32:33], v2, s[4:5]
	s_wait_loadcnt 0x0
	v_mul_lo_u32 v33, s6, v33
	v_mul_lo_u32 v34, s7, v32
	v_mul_hi_u32 v35, s6, v32
	v_mul_lo_u32 v32, s6, v32
	s_delay_alu instid0(VALU_DEP_3) | instskip(NEXT) | instid1(VALU_DEP_1)
	v_add_nc_u32_e32 v33, v33, v34
	v_add_nc_u32_e32 v33, v33, v35
	s_and_saveexec_b32 s3, vcc_lo
	s_cbranch_execnz .LBB39_21
; %bb.18:                               ;   in Loop: Header=BB39_9 Depth=1
	s_wait_alu 0xfffe
	s_or_b32 exec_lo, exec_lo, s3
	s_and_saveexec_b32 s3, s0
	s_cbranch_execnz .LBB39_22
.LBB39_19:                              ;   in Loop: Header=BB39_9 Depth=1
	s_wait_alu 0xfffe
	s_or_b32 exec_lo, exec_lo, s3
	s_and_saveexec_b32 s0, s1
	s_cbranch_execnz .LBB39_23
.LBB39_20:                              ;   in Loop: Header=BB39_9 Depth=1
	s_wait_alu 0xfffe
	s_or_b32 exec_lo, exec_lo, s0
	s_and_saveexec_b32 s0, s2
	s_cbranch_execz .LBB39_8
	s_branch .LBB39_24
.LBB39_21:                              ;   in Loop: Header=BB39_9 Depth=1
	s_delay_alu instid0(VALU_DEP_1) | instskip(NEXT) | instid1(VALU_DEP_4)
	v_mul_lo_u32 v34, v33, v7
	v_mul_lo_u32 v35, v32, v8
	v_mad_co_u64_u32 v[7:8], null, v32, v7, 0
	s_delay_alu instid0(VALU_DEP_1)
	v_add3_u32 v8, v8, v35, v34
	v_add_co_u32 v34, vcc_lo, v13, s8
	s_wait_alu 0xfffd
	v_add_co_ci_u32_e64 v35, null, s9, v14, vcc_lo
	global_store_b64 v[34:35], v[7:8], off
	s_wait_alu 0xfffe
	s_or_b32 exec_lo, exec_lo, s3
	s_and_saveexec_b32 s3, s0
	s_cbranch_execz .LBB39_19
.LBB39_22:                              ;   in Loop: Header=BB39_9 Depth=1
	v_mul_lo_u32 v7, v33, v3
	v_mul_lo_u32 v8, v32, v4
	v_mad_co_u64_u32 v[3:4], null, v32, v3, 0
	s_delay_alu instid0(VALU_DEP_1)
	v_add3_u32 v4, v4, v8, v7
	v_add_co_u32 v7, vcc_lo, v30, s8
	s_wait_alu 0xfffd
	v_add_co_ci_u32_e64 v8, null, s9, v31, vcc_lo
	global_store_b64 v[7:8], v[3:4], off
	s_wait_alu 0xfffe
	s_or_b32 exec_lo, exec_lo, s3
	s_and_saveexec_b32 s0, s1
	s_cbranch_execz .LBB39_20
.LBB39_23:                              ;   in Loop: Header=BB39_9 Depth=1
	v_mul_lo_u32 v7, v33, v9
	v_mul_lo_u32 v8, v32, v10
	v_mad_co_u64_u32 v[3:4], null, v32, v9, 0
	s_delay_alu instid0(VALU_DEP_1)
	v_add3_u32 v4, v4, v8, v7
	v_add_co_u32 v7, vcc_lo, v23, s8
	s_wait_alu 0xfffd
	v_add_co_ci_u32_e64 v8, null, s9, v24, vcc_lo
	global_store_b64 v[7:8], v[3:4], off
	s_wait_alu 0xfffe
	s_or_b32 exec_lo, exec_lo, s0
	s_and_saveexec_b32 s0, s2
	s_cbranch_execz .LBB39_8
.LBB39_24:                              ;   in Loop: Header=BB39_9 Depth=1
	v_mul_lo_u32 v7, v33, v5
	v_mul_lo_u32 v6, v32, v6
	v_mad_co_u64_u32 v[3:4], null, v32, v5, 0
	v_add_co_u32 v5, vcc_lo, v17, s8
	s_delay_alu instid0(VALU_DEP_2)
	v_add3_u32 v4, v4, v6, v7
	s_wait_alu 0xfffd
	v_add_co_ci_u32_e64 v6, null, s9, v18, vcc_lo
	global_store_b64 v[5:6], v[3:4], off
	s_branch .LBB39_8
.LBB39_25:
	s_endpgm
	.section	.rodata,"a",@progbits
	.p2align	6, 0x0
	.amdhsa_kernel _ZN2at6native12_GLOBAL__N_125multi_tensor_apply_kernelINS1_18TensorListMetadataILi2EEENS1_27BinaryOpScalarTensorFunctorIlLi2ELi1ELi1EEEJSt10multipliesIlEPllEEEvT_T0_DpT1_
		.amdhsa_group_segment_fixed_size 0
		.amdhsa_private_segment_fixed_size 0
		.amdhsa_kernarg_size 3424
		.amdhsa_user_sgpr_count 2
		.amdhsa_user_sgpr_dispatch_ptr 0
		.amdhsa_user_sgpr_queue_ptr 0
		.amdhsa_user_sgpr_kernarg_segment_ptr 1
		.amdhsa_user_sgpr_dispatch_id 0
		.amdhsa_user_sgpr_private_segment_size 0
		.amdhsa_wavefront_size32 1
		.amdhsa_uses_dynamic_stack 0
		.amdhsa_enable_private_segment 0
		.amdhsa_system_sgpr_workgroup_id_x 1
		.amdhsa_system_sgpr_workgroup_id_y 0
		.amdhsa_system_sgpr_workgroup_id_z 0
		.amdhsa_system_sgpr_workgroup_info 0
		.amdhsa_system_vgpr_workitem_id 0
		.amdhsa_next_free_vgpr 36
		.amdhsa_next_free_sgpr 24
		.amdhsa_reserve_vcc 1
		.amdhsa_float_round_mode_32 0
		.amdhsa_float_round_mode_16_64 0
		.amdhsa_float_denorm_mode_32 3
		.amdhsa_float_denorm_mode_16_64 3
		.amdhsa_fp16_overflow 0
		.amdhsa_workgroup_processor_mode 1
		.amdhsa_memory_ordered 1
		.amdhsa_forward_progress 1
		.amdhsa_inst_pref_size 17
		.amdhsa_round_robin_scheduling 0
		.amdhsa_exception_fp_ieee_invalid_op 0
		.amdhsa_exception_fp_denorm_src 0
		.amdhsa_exception_fp_ieee_div_zero 0
		.amdhsa_exception_fp_ieee_overflow 0
		.amdhsa_exception_fp_ieee_underflow 0
		.amdhsa_exception_fp_ieee_inexact 0
		.amdhsa_exception_int_div_zero 0
	.end_amdhsa_kernel
	.section	.text._ZN2at6native12_GLOBAL__N_125multi_tensor_apply_kernelINS1_18TensorListMetadataILi2EEENS1_27BinaryOpScalarTensorFunctorIlLi2ELi1ELi1EEEJSt10multipliesIlEPllEEEvT_T0_DpT1_,"axG",@progbits,_ZN2at6native12_GLOBAL__N_125multi_tensor_apply_kernelINS1_18TensorListMetadataILi2EEENS1_27BinaryOpScalarTensorFunctorIlLi2ELi1ELi1EEEJSt10multipliesIlEPllEEEvT_T0_DpT1_,comdat
.Lfunc_end39:
	.size	_ZN2at6native12_GLOBAL__N_125multi_tensor_apply_kernelINS1_18TensorListMetadataILi2EEENS1_27BinaryOpScalarTensorFunctorIlLi2ELi1ELi1EEEJSt10multipliesIlEPllEEEvT_T0_DpT1_, .Lfunc_end39-_ZN2at6native12_GLOBAL__N_125multi_tensor_apply_kernelINS1_18TensorListMetadataILi2EEENS1_27BinaryOpScalarTensorFunctorIlLi2ELi1ELi1EEEJSt10multipliesIlEPllEEEvT_T0_DpT1_
                                        ; -- End function
	.set _ZN2at6native12_GLOBAL__N_125multi_tensor_apply_kernelINS1_18TensorListMetadataILi2EEENS1_27BinaryOpScalarTensorFunctorIlLi2ELi1ELi1EEEJSt10multipliesIlEPllEEEvT_T0_DpT1_.num_vgpr, 36
	.set _ZN2at6native12_GLOBAL__N_125multi_tensor_apply_kernelINS1_18TensorListMetadataILi2EEENS1_27BinaryOpScalarTensorFunctorIlLi2ELi1ELi1EEEJSt10multipliesIlEPllEEEvT_T0_DpT1_.num_agpr, 0
	.set _ZN2at6native12_GLOBAL__N_125multi_tensor_apply_kernelINS1_18TensorListMetadataILi2EEENS1_27BinaryOpScalarTensorFunctorIlLi2ELi1ELi1EEEJSt10multipliesIlEPllEEEvT_T0_DpT1_.numbered_sgpr, 24
	.set _ZN2at6native12_GLOBAL__N_125multi_tensor_apply_kernelINS1_18TensorListMetadataILi2EEENS1_27BinaryOpScalarTensorFunctorIlLi2ELi1ELi1EEEJSt10multipliesIlEPllEEEvT_T0_DpT1_.num_named_barrier, 0
	.set _ZN2at6native12_GLOBAL__N_125multi_tensor_apply_kernelINS1_18TensorListMetadataILi2EEENS1_27BinaryOpScalarTensorFunctorIlLi2ELi1ELi1EEEJSt10multipliesIlEPllEEEvT_T0_DpT1_.private_seg_size, 0
	.set _ZN2at6native12_GLOBAL__N_125multi_tensor_apply_kernelINS1_18TensorListMetadataILi2EEENS1_27BinaryOpScalarTensorFunctorIlLi2ELi1ELi1EEEJSt10multipliesIlEPllEEEvT_T0_DpT1_.uses_vcc, 1
	.set _ZN2at6native12_GLOBAL__N_125multi_tensor_apply_kernelINS1_18TensorListMetadataILi2EEENS1_27BinaryOpScalarTensorFunctorIlLi2ELi1ELi1EEEJSt10multipliesIlEPllEEEvT_T0_DpT1_.uses_flat_scratch, 0
	.set _ZN2at6native12_GLOBAL__N_125multi_tensor_apply_kernelINS1_18TensorListMetadataILi2EEENS1_27BinaryOpScalarTensorFunctorIlLi2ELi1ELi1EEEJSt10multipliesIlEPllEEEvT_T0_DpT1_.has_dyn_sized_stack, 0
	.set _ZN2at6native12_GLOBAL__N_125multi_tensor_apply_kernelINS1_18TensorListMetadataILi2EEENS1_27BinaryOpScalarTensorFunctorIlLi2ELi1ELi1EEEJSt10multipliesIlEPllEEEvT_T0_DpT1_.has_recursion, 0
	.set _ZN2at6native12_GLOBAL__N_125multi_tensor_apply_kernelINS1_18TensorListMetadataILi2EEENS1_27BinaryOpScalarTensorFunctorIlLi2ELi1ELi1EEEJSt10multipliesIlEPllEEEvT_T0_DpT1_.has_indirect_call, 0
	.section	.AMDGPU.csdata,"",@progbits
; Kernel info:
; codeLenInByte = 2064
; TotalNumSgprs: 26
; NumVgprs: 36
; ScratchSize: 0
; MemoryBound: 0
; FloatMode: 240
; IeeeMode: 1
; LDSByteSize: 0 bytes/workgroup (compile time only)
; SGPRBlocks: 0
; VGPRBlocks: 4
; NumSGPRsForWavesPerEU: 26
; NumVGPRsForWavesPerEU: 36
; Occupancy: 16
; WaveLimiterHint : 0
; COMPUTE_PGM_RSRC2:SCRATCH_EN: 0
; COMPUTE_PGM_RSRC2:USER_SGPR: 2
; COMPUTE_PGM_RSRC2:TRAP_HANDLER: 0
; COMPUTE_PGM_RSRC2:TGID_X_EN: 1
; COMPUTE_PGM_RSRC2:TGID_Y_EN: 0
; COMPUTE_PGM_RSRC2:TGID_Z_EN: 0
; COMPUTE_PGM_RSRC2:TIDIG_COMP_CNT: 0
	.section	.text._ZN2at6native12_GLOBAL__N_125multi_tensor_apply_kernelINS1_18TensorListMetadataILi2EEENS1_27BinaryOpScalarTensorFunctorIsLi2ELi1ELi1EEEJSt10multipliesIsEPssEEEvT_T0_DpT1_,"axG",@progbits,_ZN2at6native12_GLOBAL__N_125multi_tensor_apply_kernelINS1_18TensorListMetadataILi2EEENS1_27BinaryOpScalarTensorFunctorIsLi2ELi1ELi1EEEJSt10multipliesIsEPssEEEvT_T0_DpT1_,comdat
	.globl	_ZN2at6native12_GLOBAL__N_125multi_tensor_apply_kernelINS1_18TensorListMetadataILi2EEENS1_27BinaryOpScalarTensorFunctorIsLi2ELi1ELi1EEEJSt10multipliesIsEPssEEEvT_T0_DpT1_ ; -- Begin function _ZN2at6native12_GLOBAL__N_125multi_tensor_apply_kernelINS1_18TensorListMetadataILi2EEENS1_27BinaryOpScalarTensorFunctorIsLi2ELi1ELi1EEEJSt10multipliesIsEPssEEEvT_T0_DpT1_
	.p2align	8
	.type	_ZN2at6native12_GLOBAL__N_125multi_tensor_apply_kernelINS1_18TensorListMetadataILi2EEENS1_27BinaryOpScalarTensorFunctorIsLi2ELi1ELi1EEEJSt10multipliesIsEPssEEEvT_T0_DpT1_,@function
_ZN2at6native12_GLOBAL__N_125multi_tensor_apply_kernelINS1_18TensorListMetadataILi2EEENS1_27BinaryOpScalarTensorFunctorIsLi2ELi1ELi1EEEJSt10multipliesIsEPssEEEvT_T0_DpT1_: ; @_ZN2at6native12_GLOBAL__N_125multi_tensor_apply_kernelINS1_18TensorListMetadataILi2EEENS1_27BinaryOpScalarTensorFunctorIsLi2ELi1ELi1EEEJSt10multipliesIsEPssEEEvT_T0_DpT1_
; %bb.0:
	s_mov_b32 s2, ttmp9
	s_mov_b32 s3, 0
	s_delay_alu instid0(SALU_CYCLE_1)
	s_mul_u64 s[4:5], s[2:3], 3
	s_add_nc_u64 s[6:7], s[0:1], s[2:3]
	s_mov_b32 s15, s3
	s_add_nc_u64 s[4:5], s[6:7], s[4:5]
	s_clause 0x1
	s_load_b32 s10, s[4:5], 0x740
	s_load_u8 s2, s[0:1], ttmp9 offset:0x600
	s_mov_b32 s21, s3
	s_wait_kmcnt 0x0
	s_ashr_i32 s11, s10, 31
	s_lshl_b32 s2, s2, 3
	s_clause 0x3
	s_load_b64 s[16:17], s[0:1], s2 offset:0x0
	s_load_b64 s[18:19], s[0:1], s2 offset:0x200
	;; [unrolled: 1-line block ×3, first 2 shown]
	s_load_b96 s[4:6], s[0:1], 0xc50
	s_lshl_b64 s[8:9], s[10:11], 17
	s_lshl_b64 s[10:11], s[10:11], 16
	s_wait_kmcnt 0x0
	s_add_nc_u64 s[22:23], s[16:17], s[8:9]
	s_and_b32 s14, s18, 7
	s_and_b32 s20, s12, 3
	;; [unrolled: 1-line block ×3, first 2 shown]
	s_or_b64 s[14:15], s[14:15], s[20:21]
	s_sub_nc_u64 s[12:13], s[12:13], s[10:11]
	s_or_b64 s[2:3], s[14:15], s[2:3]
	s_delay_alu instid0(SALU_CYCLE_1)
	s_cmp_eq_u64 s[2:3], 0
	s_mov_b32 s2, -1
	s_cbranch_scc0 .LBB40_5
; %bb.1:
	v_cmp_gt_i64_e64 s2, 0x10000, s[12:13]
	v_dual_mov_b32 v2, 0 :: v_dual_lshlrev_b32 v1, 2, v0
	s_mov_b32 s3, exec_lo
	s_and_b32 s2, s2, exec_lo
	s_cselect_b32 s11, s13, 0
	s_cselect_b32 s10, s12, 0x10000
	s_delay_alu instid0(SALU_CYCLE_1)
	v_cmpx_gt_i64_e64 s[10:11], v[1:2]
	s_cbranch_execz .LBB40_4
; %bb.2:
	s_load_b32 s2, s[0:1], 0xc6c
	v_lshlrev_b32_e32 v3, 3, v0
	v_mov_b32_e32 v1, v2
	s_mov_b32 s14, 0
	s_delay_alu instid0(VALU_DEP_2) | instskip(NEXT) | instid1(VALU_DEP_1)
	v_add_co_u32 v5, s7, s8, v3
	v_add_co_ci_u32_e64 v6, null, s9, 0, s7
	s_delay_alu instid0(VALU_DEP_3)
	v_dual_mov_b32 v4, v1 :: v_dual_mov_b32 v3, v0
	s_wait_kmcnt 0x0
	s_and_b32 s7, s2, 0xffff
	s_wait_alu 0xfffe
	s_lshl_b32 s15, s7, 3
.LBB40_3:                               ; =>This Inner Loop Header: Depth=1
	global_load_u16 v1, v2, s[4:5]
	v_add_co_u32 v7, vcc_lo, s16, v5
	s_wait_alu 0xfffd
	v_add_co_ci_u32_e64 v8, null, s17, v6, vcc_lo
	v_add_co_u32 v3, vcc_lo, v3, s7
	s_wait_alu 0xfffd
	v_add_co_ci_u32_e64 v4, null, 0, v4, vcc_lo
	global_load_b64 v[7:8], v[7:8], off
	v_add_co_u32 v9, vcc_lo, s18, v5
	v_lshlrev_b64_e32 v[11:12], 2, v[3:4]
	s_wait_alu 0xfffd
	v_add_co_ci_u32_e64 v10, null, s19, v6, vcc_lo
	v_add_co_u32 v5, vcc_lo, v5, s15
	s_wait_alu 0xfffd
	v_add_co_ci_u32_e64 v6, null, 0, v6, vcc_lo
	v_cmp_le_i64_e64 s2, s[10:11], v[11:12]
	s_or_b32 s14, s2, s14
	s_wait_loadcnt 0x1
	v_mul_lo_u32 v1, v1, s6
	s_wait_loadcnt 0x0
	s_delay_alu instid0(VALU_DEP_1)
	v_pk_mul_lo_u16 v8, v1, v8 op_sel_hi:[0,1]
	v_pk_mul_lo_u16 v7, v1, v7 op_sel_hi:[0,1]
	global_store_b64 v[9:10], v[7:8], off
	s_wait_alu 0xfffe
	s_and_not1_b32 exec_lo, exec_lo, s14
	s_cbranch_execnz .LBB40_3
.LBB40_4:
	s_or_b32 exec_lo, exec_lo, s3
	s_mov_b32 s2, 0
.LBB40_5:
	s_delay_alu instid0(SALU_CYCLE_1)
	s_and_not1_b32 vcc_lo, exec_lo, s2
	s_wait_alu 0xfffe
	s_cbranch_vccnz .LBB40_25
; %bb.6:
	v_cmp_lt_i64_e64 s2, s[12:13], 1
	s_and_b32 vcc_lo, exec_lo, s2
	s_wait_alu 0xfffe
	s_cbranch_vccnz .LBB40_25
; %bb.7:
	s_load_b32 s0, s[0:1], 0xc6c
	v_cmp_gt_i64_e64 s1, 0x10000, s[12:13]
	v_dual_mov_b32 v2, 0 :: v_dual_lshlrev_b32 v1, 1, v0
	v_cmp_gt_u64_e64 s2, 0x10000, s[12:13]
	v_mov_b32_e32 v24, 0
	s_mov_b32 s15, 0
	s_and_b32 s1, s1, exec_lo
	v_add_co_u32 v3, s3, s16, v1
	s_cselect_b32 s11, s13, 0
	s_cselect_b32 s10, s12, 0x10000
	v_add_co_ci_u32_e64 v4, null, s17, 0, s3
	v_add_co_u32 v5, s3, s18, v1
	s_wait_alu 0xf1ff
	v_add_co_ci_u32_e64 v6, null, s19, 0, s3
	v_mov_b32_e32 v25, 0
	s_wait_kmcnt 0x0
	s_and_b32 s0, s0, 0xffff
	s_and_b32 s1, s2, exec_lo
	s_cselect_b32 s13, s13, 0
	s_cselect_b32 s12, s12, 0x10000
	s_mul_i32 s2, s0, 3
	s_lshl_b32 s14, s0, 2
	v_mad_co_u64_u32 v[9:10], null, s0, 6, v[1:2]
	s_wait_alu 0xfffe
	v_add_co_u32 v15, s3, s14, v1
	v_add_co_u32 v1, s2, s2, v0
	s_wait_alu 0xf1ff
	v_add_co_ci_u32_e64 v11, null, 0, 0, s2
	v_add_co_u32 v14, s2, v0, s0
	s_lshl_b32 s1, s0, 1
	v_add_co_u32 v7, vcc_lo, s16, v9
	v_lshlrev_b32_e32 v22, 1, v14
	v_add_co_ci_u32_e64 v16, null, 0, 0, s3
	s_wait_alu 0xfffd
	v_add_co_ci_u32_e64 v8, null, s17, v10, vcc_lo
	v_add_co_u32 v9, vcc_lo, s18, v9
	s_wait_alu 0xfffe
	v_add_co_u32 v18, s1, s1, v0
	s_wait_alu 0xfffd
	v_add_co_ci_u32_e64 v10, null, s19, v10, vcc_lo
	v_add_co_u32 v12, vcc_lo, s16, v15
	s_wait_alu 0xf1ff
	v_add_co_ci_u32_e64 v19, null, 0, 0, s1
	v_add_co_u32 v20, s1, s16, v22
	s_wait_alu 0xfffd
	v_add_co_ci_u32_e64 v13, null, s17, v16, vcc_lo
	v_add_co_u32 v15, vcc_lo, s18, v15
	s_wait_alu 0xf1ff
	v_add_co_ci_u32_e64 v21, null, s17, 0, s1
	v_add_co_u32 v22, s1, s18, v22
	s_wait_alu 0xfffd
	v_add_co_ci_u32_e64 v16, null, s19, v16, vcc_lo
	v_add_co_ci_u32_e64 v17, null, 0, 0, s2
	s_wait_alu 0xf1ff
	v_add_co_ci_u32_e64 v23, null, s19, 0, s1
	s_lshl_b32 s7, s0, 3
	s_mov_b64 s[16:17], 0
	s_branch .LBB40_9
.LBB40_8:                               ;   in Loop: Header=BB40_9 Depth=1
	s_wait_alu 0xfffe
	s_or_b32 exec_lo, exec_lo, s0
	v_add_co_u32 v3, vcc_lo, v3, s7
	s_wait_alu 0xfffd
	v_add_co_ci_u32_e64 v4, null, 0, v4, vcc_lo
	v_add_co_u32 v5, vcc_lo, v5, s7
	s_wait_alu 0xfffd
	v_add_co_ci_u32_e64 v6, null, 0, v6, vcc_lo
	v_add_co_u32 v7, vcc_lo, v7, s7
	s_wait_alu 0xfffd
	v_add_co_ci_u32_e64 v8, null, 0, v8, vcc_lo
	v_add_co_u32 v9, vcc_lo, v9, s7
	s_wait_alu 0xfffd
	v_add_co_ci_u32_e64 v10, null, 0, v10, vcc_lo
	v_add_co_u32 v12, vcc_lo, v12, s7
	s_wait_alu 0xfffd
	v_add_co_ci_u32_e64 v13, null, 0, v13, vcc_lo
	v_add_co_u32 v15, vcc_lo, v15, s7
	s_add_nc_u64 s[16:17], s[16:17], s[14:15]
	s_wait_alu 0xfffd
	v_add_co_ci_u32_e64 v16, null, 0, v16, vcc_lo
	v_add_co_u32 v20, vcc_lo, v20, s7
	s_wait_alu 0xfffe
	v_cmp_ge_i64_e64 s0, s[16:17], s[10:11]
	s_wait_alu 0xfffd
	v_add_co_ci_u32_e64 v21, null, 0, v21, vcc_lo
	v_add_co_u32 v22, vcc_lo, v22, s7
	s_wait_alu 0xfffd
	v_add_co_ci_u32_e64 v23, null, 0, v23, vcc_lo
	s_and_b32 vcc_lo, exec_lo, s0
	s_wait_alu 0xfffe
	s_cbranch_vccnz .LBB40_25
.LBB40_9:                               ; =>This Inner Loop Header: Depth=1
	s_wait_alu 0xfffe
	v_add_co_u32 v26, s0, v0, s16
	s_wait_alu 0xf1ff
	v_add_co_ci_u32_e64 v27, null, 0, s17, s0
	v_and_b32_e32 v25, 0xffff0000, v25
	s_delay_alu instid0(VALU_DEP_2)
	v_cmp_gt_u64_e32 vcc_lo, s[12:13], v[26:27]
	s_and_saveexec_b32 s1, vcc_lo
	s_cbranch_execz .LBB40_11
; %bb.10:                               ;   in Loop: Header=BB40_9 Depth=1
	v_add_co_u32 v26, s0, v3, s8
	s_wait_alu 0xf1ff
	v_add_co_ci_u32_e64 v27, null, s9, v4, s0
	global_load_d16_b16 v25, v[26:27], off
.LBB40_11:                              ;   in Loop: Header=BB40_9 Depth=1
	s_wait_alu 0xfffe
	s_or_b32 exec_lo, exec_lo, s1
	v_add_co_u32 v26, s0, v14, s16
	s_wait_alu 0xf1ff
	v_add_co_ci_u32_e64 v27, null, s17, v17, s0
	s_wait_loadcnt 0x0
	v_and_b32_e32 v25, 0xffff, v25
	s_delay_alu instid0(VALU_DEP_2)
	v_cmp_gt_u64_e64 s0, s[12:13], v[26:27]
	s_and_saveexec_b32 s2, s0
	s_cbranch_execz .LBB40_13
; %bb.12:                               ;   in Loop: Header=BB40_9 Depth=1
	v_add_co_u32 v26, s1, v20, s8
	s_wait_alu 0xf1ff
	v_add_co_ci_u32_e64 v27, null, s9, v21, s1
	global_load_d16_hi_b16 v25, v[26:27], off
.LBB40_13:                              ;   in Loop: Header=BB40_9 Depth=1
	s_wait_alu 0xfffe
	s_or_b32 exec_lo, exec_lo, s2
	v_add_co_u32 v26, s1, v18, s16
	s_wait_alu 0xf1ff
	v_add_co_ci_u32_e64 v27, null, s17, v19, s1
	v_and_b32_e32 v24, 0xffff0000, v24
	s_delay_alu instid0(VALU_DEP_2)
	v_cmp_gt_u64_e64 s1, s[12:13], v[26:27]
	s_and_saveexec_b32 s3, s1
	s_cbranch_execz .LBB40_15
; %bb.14:                               ;   in Loop: Header=BB40_9 Depth=1
	v_add_co_u32 v26, s2, v12, s8
	s_wait_alu 0xf1ff
	v_add_co_ci_u32_e64 v27, null, s9, v13, s2
	global_load_d16_b16 v24, v[26:27], off
.LBB40_15:                              ;   in Loop: Header=BB40_9 Depth=1
	s_wait_alu 0xfffe
	s_or_b32 exec_lo, exec_lo, s3
	v_add_co_u32 v26, s2, v1, s16
	s_wait_alu 0xf1ff
	v_add_co_ci_u32_e64 v27, null, s17, v11, s2
	s_wait_loadcnt 0x0
	v_and_b32_e32 v24, 0xffff, v24
	s_delay_alu instid0(VALU_DEP_2)
	v_cmp_gt_u64_e64 s2, s[12:13], v[26:27]
	s_and_saveexec_b32 s18, s2
	s_cbranch_execz .LBB40_17
; %bb.16:                               ;   in Loop: Header=BB40_9 Depth=1
	v_add_co_u32 v26, s3, v7, s8
	s_wait_alu 0xf1ff
	v_add_co_ci_u32_e64 v27, null, s9, v8, s3
	global_load_d16_hi_b16 v24, v[26:27], off
.LBB40_17:                              ;   in Loop: Header=BB40_9 Depth=1
	s_wait_alu 0xfffe
	s_or_b32 exec_lo, exec_lo, s18
	global_load_u16 v26, v2, s[4:5]
	s_wait_loadcnt 0x0
	v_mul_lo_u32 v26, v26, s6
	s_delay_alu instid0(VALU_DEP_1)
	v_pk_mul_lo_u16 v25, v26, v25 op_sel_hi:[0,1]
	s_and_saveexec_b32 s3, vcc_lo
	s_cbranch_execnz .LBB40_21
; %bb.18:                               ;   in Loop: Header=BB40_9 Depth=1
	s_wait_alu 0xfffe
	s_or_b32 exec_lo, exec_lo, s3
	s_and_saveexec_b32 s3, s0
	s_cbranch_execnz .LBB40_22
.LBB40_19:                              ;   in Loop: Header=BB40_9 Depth=1
	s_wait_alu 0xfffe
	s_or_b32 exec_lo, exec_lo, s3
	v_pk_mul_lo_u16 v24, v26, v24 op_sel_hi:[0,1]
	s_and_saveexec_b32 s0, s1
	s_cbranch_execnz .LBB40_23
.LBB40_20:                              ;   in Loop: Header=BB40_9 Depth=1
	s_wait_alu 0xfffe
	s_or_b32 exec_lo, exec_lo, s0
	s_and_saveexec_b32 s0, s2
	s_cbranch_execz .LBB40_8
	s_branch .LBB40_24
.LBB40_21:                              ;   in Loop: Header=BB40_9 Depth=1
	v_add_co_u32 v27, vcc_lo, v5, s8
	s_wait_alu 0xfffd
	v_add_co_ci_u32_e64 v28, null, s9, v6, vcc_lo
	global_store_b16 v[27:28], v25, off
	s_wait_alu 0xfffe
	s_or_b32 exec_lo, exec_lo, s3
	s_and_saveexec_b32 s3, s0
	s_cbranch_execz .LBB40_19
.LBB40_22:                              ;   in Loop: Header=BB40_9 Depth=1
	v_add_co_u32 v27, vcc_lo, v22, s8
	s_wait_alu 0xfffd
	v_add_co_ci_u32_e64 v28, null, s9, v23, vcc_lo
	global_store_d16_hi_b16 v[27:28], v25, off
	s_wait_alu 0xfffe
	s_or_b32 exec_lo, exec_lo, s3
	v_pk_mul_lo_u16 v24, v26, v24 op_sel_hi:[0,1]
	s_and_saveexec_b32 s0, s1
	s_cbranch_execz .LBB40_20
.LBB40_23:                              ;   in Loop: Header=BB40_9 Depth=1
	v_add_co_u32 v26, vcc_lo, v15, s8
	s_wait_alu 0xfffd
	v_add_co_ci_u32_e64 v27, null, s9, v16, vcc_lo
	global_store_b16 v[26:27], v24, off
	s_wait_alu 0xfffe
	s_or_b32 exec_lo, exec_lo, s0
	s_and_saveexec_b32 s0, s2
	s_cbranch_execz .LBB40_8
.LBB40_24:                              ;   in Loop: Header=BB40_9 Depth=1
	v_add_co_u32 v26, vcc_lo, v9, s8
	s_wait_alu 0xfffd
	v_add_co_ci_u32_e64 v27, null, s9, v10, vcc_lo
	global_store_d16_hi_b16 v[26:27], v24, off
	s_branch .LBB40_8
.LBB40_25:
	s_endpgm
	.section	.rodata,"a",@progbits
	.p2align	6, 0x0
	.amdhsa_kernel _ZN2at6native12_GLOBAL__N_125multi_tensor_apply_kernelINS1_18TensorListMetadataILi2EEENS1_27BinaryOpScalarTensorFunctorIsLi2ELi1ELi1EEEJSt10multipliesIsEPssEEEvT_T0_DpT1_
		.amdhsa_group_segment_fixed_size 0
		.amdhsa_private_segment_fixed_size 0
		.amdhsa_kernarg_size 3424
		.amdhsa_user_sgpr_count 2
		.amdhsa_user_sgpr_dispatch_ptr 0
		.amdhsa_user_sgpr_queue_ptr 0
		.amdhsa_user_sgpr_kernarg_segment_ptr 1
		.amdhsa_user_sgpr_dispatch_id 0
		.amdhsa_user_sgpr_private_segment_size 0
		.amdhsa_wavefront_size32 1
		.amdhsa_uses_dynamic_stack 0
		.amdhsa_enable_private_segment 0
		.amdhsa_system_sgpr_workgroup_id_x 1
		.amdhsa_system_sgpr_workgroup_id_y 0
		.amdhsa_system_sgpr_workgroup_id_z 0
		.amdhsa_system_sgpr_workgroup_info 0
		.amdhsa_system_vgpr_workitem_id 0
		.amdhsa_next_free_vgpr 29
		.amdhsa_next_free_sgpr 24
		.amdhsa_reserve_vcc 1
		.amdhsa_float_round_mode_32 0
		.amdhsa_float_round_mode_16_64 0
		.amdhsa_float_denorm_mode_32 3
		.amdhsa_float_denorm_mode_16_64 3
		.amdhsa_fp16_overflow 0
		.amdhsa_workgroup_processor_mode 1
		.amdhsa_memory_ordered 1
		.amdhsa_forward_progress 1
		.amdhsa_inst_pref_size 14
		.amdhsa_round_robin_scheduling 0
		.amdhsa_exception_fp_ieee_invalid_op 0
		.amdhsa_exception_fp_denorm_src 0
		.amdhsa_exception_fp_ieee_div_zero 0
		.amdhsa_exception_fp_ieee_overflow 0
		.amdhsa_exception_fp_ieee_underflow 0
		.amdhsa_exception_fp_ieee_inexact 0
		.amdhsa_exception_int_div_zero 0
	.end_amdhsa_kernel
	.section	.text._ZN2at6native12_GLOBAL__N_125multi_tensor_apply_kernelINS1_18TensorListMetadataILi2EEENS1_27BinaryOpScalarTensorFunctorIsLi2ELi1ELi1EEEJSt10multipliesIsEPssEEEvT_T0_DpT1_,"axG",@progbits,_ZN2at6native12_GLOBAL__N_125multi_tensor_apply_kernelINS1_18TensorListMetadataILi2EEENS1_27BinaryOpScalarTensorFunctorIsLi2ELi1ELi1EEEJSt10multipliesIsEPssEEEvT_T0_DpT1_,comdat
.Lfunc_end40:
	.size	_ZN2at6native12_GLOBAL__N_125multi_tensor_apply_kernelINS1_18TensorListMetadataILi2EEENS1_27BinaryOpScalarTensorFunctorIsLi2ELi1ELi1EEEJSt10multipliesIsEPssEEEvT_T0_DpT1_, .Lfunc_end40-_ZN2at6native12_GLOBAL__N_125multi_tensor_apply_kernelINS1_18TensorListMetadataILi2EEENS1_27BinaryOpScalarTensorFunctorIsLi2ELi1ELi1EEEJSt10multipliesIsEPssEEEvT_T0_DpT1_
                                        ; -- End function
	.set _ZN2at6native12_GLOBAL__N_125multi_tensor_apply_kernelINS1_18TensorListMetadataILi2EEENS1_27BinaryOpScalarTensorFunctorIsLi2ELi1ELi1EEEJSt10multipliesIsEPssEEEvT_T0_DpT1_.num_vgpr, 29
	.set _ZN2at6native12_GLOBAL__N_125multi_tensor_apply_kernelINS1_18TensorListMetadataILi2EEENS1_27BinaryOpScalarTensorFunctorIsLi2ELi1ELi1EEEJSt10multipliesIsEPssEEEvT_T0_DpT1_.num_agpr, 0
	.set _ZN2at6native12_GLOBAL__N_125multi_tensor_apply_kernelINS1_18TensorListMetadataILi2EEENS1_27BinaryOpScalarTensorFunctorIsLi2ELi1ELi1EEEJSt10multipliesIsEPssEEEvT_T0_DpT1_.numbered_sgpr, 24
	.set _ZN2at6native12_GLOBAL__N_125multi_tensor_apply_kernelINS1_18TensorListMetadataILi2EEENS1_27BinaryOpScalarTensorFunctorIsLi2ELi1ELi1EEEJSt10multipliesIsEPssEEEvT_T0_DpT1_.num_named_barrier, 0
	.set _ZN2at6native12_GLOBAL__N_125multi_tensor_apply_kernelINS1_18TensorListMetadataILi2EEENS1_27BinaryOpScalarTensorFunctorIsLi2ELi1ELi1EEEJSt10multipliesIsEPssEEEvT_T0_DpT1_.private_seg_size, 0
	.set _ZN2at6native12_GLOBAL__N_125multi_tensor_apply_kernelINS1_18TensorListMetadataILi2EEENS1_27BinaryOpScalarTensorFunctorIsLi2ELi1ELi1EEEJSt10multipliesIsEPssEEEvT_T0_DpT1_.uses_vcc, 1
	.set _ZN2at6native12_GLOBAL__N_125multi_tensor_apply_kernelINS1_18TensorListMetadataILi2EEENS1_27BinaryOpScalarTensorFunctorIsLi2ELi1ELi1EEEJSt10multipliesIsEPssEEEvT_T0_DpT1_.uses_flat_scratch, 0
	.set _ZN2at6native12_GLOBAL__N_125multi_tensor_apply_kernelINS1_18TensorListMetadataILi2EEENS1_27BinaryOpScalarTensorFunctorIsLi2ELi1ELi1EEEJSt10multipliesIsEPssEEEvT_T0_DpT1_.has_dyn_sized_stack, 0
	.set _ZN2at6native12_GLOBAL__N_125multi_tensor_apply_kernelINS1_18TensorListMetadataILi2EEENS1_27BinaryOpScalarTensorFunctorIsLi2ELi1ELi1EEEJSt10multipliesIsEPssEEEvT_T0_DpT1_.has_recursion, 0
	.set _ZN2at6native12_GLOBAL__N_125multi_tensor_apply_kernelINS1_18TensorListMetadataILi2EEENS1_27BinaryOpScalarTensorFunctorIsLi2ELi1ELi1EEEJSt10multipliesIsEPssEEEvT_T0_DpT1_.has_indirect_call, 0
	.section	.AMDGPU.csdata,"",@progbits
; Kernel info:
; codeLenInByte = 1728
; TotalNumSgprs: 26
; NumVgprs: 29
; ScratchSize: 0
; MemoryBound: 0
; FloatMode: 240
; IeeeMode: 1
; LDSByteSize: 0 bytes/workgroup (compile time only)
; SGPRBlocks: 0
; VGPRBlocks: 3
; NumSGPRsForWavesPerEU: 26
; NumVGPRsForWavesPerEU: 29
; Occupancy: 16
; WaveLimiterHint : 0
; COMPUTE_PGM_RSRC2:SCRATCH_EN: 0
; COMPUTE_PGM_RSRC2:USER_SGPR: 2
; COMPUTE_PGM_RSRC2:TRAP_HANDLER: 0
; COMPUTE_PGM_RSRC2:TGID_X_EN: 1
; COMPUTE_PGM_RSRC2:TGID_Y_EN: 0
; COMPUTE_PGM_RSRC2:TGID_Z_EN: 0
; COMPUTE_PGM_RSRC2:TIDIG_COMP_CNT: 0
	.section	.text._ZN2at6native12_GLOBAL__N_125multi_tensor_apply_kernelINS1_18TensorListMetadataILi2EEENS1_27BinaryOpScalarTensorFunctorIdLi2ELi1ELi1EEEJSt10multipliesIdEPddEEEvT_T0_DpT1_,"axG",@progbits,_ZN2at6native12_GLOBAL__N_125multi_tensor_apply_kernelINS1_18TensorListMetadataILi2EEENS1_27BinaryOpScalarTensorFunctorIdLi2ELi1ELi1EEEJSt10multipliesIdEPddEEEvT_T0_DpT1_,comdat
	.globl	_ZN2at6native12_GLOBAL__N_125multi_tensor_apply_kernelINS1_18TensorListMetadataILi2EEENS1_27BinaryOpScalarTensorFunctorIdLi2ELi1ELi1EEEJSt10multipliesIdEPddEEEvT_T0_DpT1_ ; -- Begin function _ZN2at6native12_GLOBAL__N_125multi_tensor_apply_kernelINS1_18TensorListMetadataILi2EEENS1_27BinaryOpScalarTensorFunctorIdLi2ELi1ELi1EEEJSt10multipliesIdEPddEEEvT_T0_DpT1_
	.p2align	8
	.type	_ZN2at6native12_GLOBAL__N_125multi_tensor_apply_kernelINS1_18TensorListMetadataILi2EEENS1_27BinaryOpScalarTensorFunctorIdLi2ELi1ELi1EEEJSt10multipliesIdEPddEEEvT_T0_DpT1_,@function
_ZN2at6native12_GLOBAL__N_125multi_tensor_apply_kernelINS1_18TensorListMetadataILi2EEENS1_27BinaryOpScalarTensorFunctorIdLi2ELi1ELi1EEEJSt10multipliesIdEPddEEEvT_T0_DpT1_: ; @_ZN2at6native12_GLOBAL__N_125multi_tensor_apply_kernelINS1_18TensorListMetadataILi2EEENS1_27BinaryOpScalarTensorFunctorIdLi2ELi1ELi1EEEJSt10multipliesIdEPddEEEvT_T0_DpT1_
; %bb.0:
	s_mov_b32 s2, ttmp9
	s_mov_b32 s3, 0
	s_delay_alu instid0(SALU_CYCLE_1)
	s_mul_u64 s[4:5], s[2:3], 3
	s_add_nc_u64 s[6:7], s[0:1], s[2:3]
	s_mov_b32 s15, s3
	s_add_nc_u64 s[4:5], s[6:7], s[4:5]
	s_clause 0x1
	s_load_b32 s10, s[4:5], 0x740
	s_load_u8 s2, s[0:1], ttmp9 offset:0x600
	s_mov_b32 s21, s3
	s_wait_kmcnt 0x0
	s_ashr_i32 s11, s10, 31
	s_lshl_b32 s2, s2, 3
	s_clause 0x3
	s_load_b64 s[16:17], s[0:1], s2 offset:0x0
	s_load_b64 s[18:19], s[0:1], s2 offset:0x200
	;; [unrolled: 1-line block ×3, first 2 shown]
	s_load_b128 s[4:7], s[0:1], 0xc50
	s_lshl_b64 s[8:9], s[10:11], 19
	s_lshl_b64 s[10:11], s[10:11], 16
	s_wait_kmcnt 0x0
	s_add_nc_u64 s[22:23], s[16:17], s[8:9]
	s_and_b32 s14, s18, 31
	s_and_b32 s20, s12, 3
	;; [unrolled: 1-line block ×3, first 2 shown]
	s_or_b64 s[14:15], s[14:15], s[20:21]
	s_delay_alu instid0(SALU_CYCLE_1)
	s_or_b64 s[2:3], s[14:15], s[2:3]
	s_sub_nc_u64 s[14:15], s[12:13], s[10:11]
	s_cmp_eq_u64 s[2:3], 0
	s_mov_b32 s2, -1
	s_cbranch_scc0 .LBB41_5
; %bb.1:
	v_cmp_gt_i64_e64 s2, 0x10000, s[14:15]
	v_dual_mov_b32 v2, 0 :: v_dual_lshlrev_b32 v1, 2, v0
	s_mov_b32 s3, exec_lo
	s_and_b32 s2, s2, exec_lo
	s_cselect_b32 s11, s15, 0
	s_cselect_b32 s10, s14, 0x10000
	s_delay_alu instid0(SALU_CYCLE_1)
	v_cmpx_gt_i64_e64 s[10:11], v[1:2]
	s_cbranch_execz .LBB41_4
; %bb.2:
	s_load_b32 s2, s[0:1], 0xc6c
	v_lshlrev_b32_e32 v3, 5, v0
	v_mov_b32_e32 v1, v2
	s_mov_b32 s13, 0
	s_delay_alu instid0(VALU_DEP_2) | instskip(NEXT) | instid1(VALU_DEP_1)
	v_add_co_u32 v5, s12, s8, v3
	v_add_co_ci_u32_e64 v6, null, s9, 0, s12
	s_delay_alu instid0(VALU_DEP_3)
	v_dual_mov_b32 v4, v1 :: v_dual_mov_b32 v3, v0
	s_wait_kmcnt 0x0
	s_and_b32 s12, s2, 0xffff
	s_wait_alu 0xfffe
	s_lshl_b32 s20, s12, 5
.LBB41_3:                               ; =>This Inner Loop Header: Depth=1
	global_load_b64 v[15:16], v2, s[4:5]
	v_add_co_u32 v11, vcc_lo, s16, v5
	s_wait_alu 0xfffd
	v_add_co_ci_u32_e64 v12, null, s17, v6, vcc_lo
	v_add_co_u32 v3, vcc_lo, v3, s12
	s_clause 0x1
	global_load_b128 v[7:10], v[11:12], off
	global_load_b128 v[11:14], v[11:12], off offset:16
	s_wait_alu 0xfffd
	v_add_co_ci_u32_e64 v4, null, 0, v4, vcc_lo
	v_add_co_u32 v17, vcc_lo, s18, v5
	s_wait_alu 0xfffd
	v_add_co_ci_u32_e64 v18, null, s19, v6, vcc_lo
	v_add_co_u32 v5, s2, v5, s20
	s_wait_alu 0xf1ff
	v_add_co_ci_u32_e64 v6, null, 0, v6, s2
	s_wait_loadcnt 0x2
	v_mul_f64_e32 v[15:16], s[6:7], v[15:16]
	s_wait_loadcnt 0x1
	s_delay_alu instid0(VALU_DEP_1)
	v_mul_f64_e32 v[7:8], v[7:8], v[15:16]
	v_mul_f64_e32 v[9:10], v[9:10], v[15:16]
	s_wait_loadcnt 0x0
	v_mul_f64_e32 v[11:12], v[11:12], v[15:16]
	v_mul_f64_e32 v[13:14], v[13:14], v[15:16]
	v_lshlrev_b64_e32 v[15:16], 2, v[3:4]
	s_clause 0x1
	global_store_b128 v[17:18], v[7:10], off
	global_store_b128 v[17:18], v[11:14], off offset:16
	v_cmp_le_i64_e32 vcc_lo, s[10:11], v[15:16]
	s_or_b32 s13, vcc_lo, s13
	s_wait_alu 0xfffe
	s_and_not1_b32 exec_lo, exec_lo, s13
	s_cbranch_execnz .LBB41_3
.LBB41_4:
	s_or_b32 exec_lo, exec_lo, s3
	s_mov_b32 s2, 0
.LBB41_5:
	s_wait_alu 0xfffe
	s_and_not1_b32 vcc_lo, exec_lo, s2
	s_wait_alu 0xfffe
	s_cbranch_vccnz .LBB41_25
; %bb.6:
	v_cmp_lt_i64_e64 s2, s[14:15], 1
	s_and_b32 vcc_lo, exec_lo, s2
	s_wait_alu 0xfffe
	s_cbranch_vccnz .LBB41_25
; %bb.7:
	s_load_b32 s0, s[0:1], 0xc6c
	v_cmp_gt_i64_e64 s1, 0x10000, s[14:15]
	v_dual_mov_b32 v2, 0 :: v_dual_lshlrev_b32 v1, 3, v0
	v_cmp_gt_u64_e64 s2, 0x10000, s[14:15]
	s_mov_b32 s11, 0
	s_and_b32 s1, s1, exec_lo
	s_cselect_b32 s13, s15, 0
	s_cselect_b32 s12, s14, 0x10000
	v_add_co_u32 v15, s1, s18, v1
	v_add_co_u32 v13, s3, s16, v1
	v_add_co_ci_u32_e64 v16, null, s19, 0, s1
	s_wait_alu 0xf1ff
	v_add_co_ci_u32_e64 v14, null, s17, 0, s3
	s_wait_kmcnt 0x0
	s_and_b32 s0, s0, 0xffff
	s_and_b32 s1, s2, exec_lo
	s_wait_alu 0xfffe
	v_mad_co_u64_u32 v[3:4], null, s0, 24, v[1:2]
	s_cselect_b32 s15, s15, 0
	s_cselect_b32 s14, s14, 0x10000
	s_mul_i32 s2, s0, 3
	s_lshl_b32 s3, s0, 4
	s_lshl_b32 s1, s0, 1
	s_lshl_b32 s10, s0, 2
	v_add_co_u32 v17, vcc_lo, s16, v3
	s_wait_alu 0xfffd
	v_add_co_ci_u32_e64 v18, null, s17, v4, vcc_lo
	v_add_co_u32 v19, vcc_lo, s18, v3
	s_wait_alu 0xfffe
	v_add_co_u32 v3, s3, s3, v1
	v_add_co_u32 v1, s2, s2, v0
	s_wait_alu 0xfffd
	v_add_co_ci_u32_e64 v20, null, s19, v4, vcc_lo
	s_wait_alu 0xf1ff
	v_add_co_ci_u32_e64 v4, null, 0, 0, s3
	v_add_co_ci_u32_e64 v21, null, 0, 0, s2
	v_add_co_u32 v24, s2, v0, s0
	v_add_co_u32 v22, vcc_lo, s16, v3
	s_wait_alu 0xfffd
	v_add_co_ci_u32_e64 v23, null, s17, v4, vcc_lo
	v_add_co_u32 v25, vcc_lo, s18, v3
	v_lshlrev_b32_e32 v3, 3, v24
	v_add_co_u32 v28, s1, s1, v0
	s_wait_alu 0xf1ff
	v_add_co_ci_u32_e64 v29, null, 0, 0, s1
	s_delay_alu instid0(VALU_DEP_3)
	v_add_co_u32 v30, s1, s16, v3
	s_wait_alu 0xf1ff
	v_add_co_ci_u32_e64 v31, null, s17, 0, s1
	v_add_co_u32 v32, s1, s18, v3
	s_wait_alu 0xfffd
	v_add_co_ci_u32_e64 v26, null, s19, v4, vcc_lo
	v_add_co_ci_u32_e64 v27, null, 0, 0, s2
	s_wait_alu 0xf1ff
	v_add_co_ci_u32_e64 v33, null, s19, 0, s1
	s_lshl_b32 s18, s0, 5
	s_mov_b64 s[16:17], 0
	s_branch .LBB41_9
.LBB41_8:                               ;   in Loop: Header=BB41_9 Depth=1
	s_wait_alu 0xfffe
	s_or_b32 exec_lo, exec_lo, s0
	v_add_co_u32 v13, vcc_lo, v13, s18
	s_wait_alu 0xfffd
	v_add_co_ci_u32_e64 v14, null, 0, v14, vcc_lo
	v_add_co_u32 v15, vcc_lo, v15, s18
	s_wait_alu 0xfffd
	v_add_co_ci_u32_e64 v16, null, 0, v16, vcc_lo
	;; [unrolled: 3-line block ×5, first 2 shown]
	v_add_co_u32 v25, vcc_lo, v25, s18
	s_add_nc_u64 s[16:17], s[16:17], s[10:11]
	s_wait_alu 0xfffd
	v_add_co_ci_u32_e64 v26, null, 0, v26, vcc_lo
	v_add_co_u32 v30, vcc_lo, v30, s18
	s_wait_alu 0xfffe
	v_cmp_ge_i64_e64 s0, s[16:17], s[12:13]
	s_wait_alu 0xfffd
	v_add_co_ci_u32_e64 v31, null, 0, v31, vcc_lo
	v_add_co_u32 v32, vcc_lo, v32, s18
	s_wait_alu 0xfffd
	v_add_co_ci_u32_e64 v33, null, 0, v33, vcc_lo
	s_and_b32 vcc_lo, exec_lo, s0
	s_wait_alu 0xfffe
	s_cbranch_vccnz .LBB41_25
.LBB41_9:                               ; =>This Inner Loop Header: Depth=1
	s_wait_alu 0xfffe
	v_add_co_u32 v5, s0, v0, s16
	s_wait_alu 0xf1ff
	v_add_co_ci_u32_e64 v6, null, 0, s17, s0
	v_mov_b32_e32 v3, 0
	v_mov_b32_e32 v4, 0
	s_delay_alu instid0(VALU_DEP_3)
	v_cmp_gt_u64_e32 vcc_lo, s[14:15], v[5:6]
	v_mov_b32_e32 v5, 0
	v_mov_b32_e32 v6, 0
	s_and_saveexec_b32 s1, vcc_lo
	s_cbranch_execz .LBB41_11
; %bb.10:                               ;   in Loop: Header=BB41_9 Depth=1
	v_add_co_u32 v5, s0, v13, s8
	s_wait_alu 0xf1ff
	v_add_co_ci_u32_e64 v6, null, s9, v14, s0
	global_load_b64 v[5:6], v[5:6], off
.LBB41_11:                              ;   in Loop: Header=BB41_9 Depth=1
	s_wait_alu 0xfffe
	s_or_b32 exec_lo, exec_lo, s1
	v_add_co_u32 v7, s0, v24, s16
	s_wait_alu 0xf1ff
	v_add_co_ci_u32_e64 v8, null, s17, v27, s0
	s_delay_alu instid0(VALU_DEP_1)
	v_cmp_gt_u64_e64 s0, s[14:15], v[7:8]
	s_and_saveexec_b32 s2, s0
	s_cbranch_execz .LBB41_13
; %bb.12:                               ;   in Loop: Header=BB41_9 Depth=1
	v_add_co_u32 v3, s1, v30, s8
	s_wait_alu 0xf1ff
	v_add_co_ci_u32_e64 v4, null, s9, v31, s1
	global_load_b64 v[3:4], v[3:4], off
.LBB41_13:                              ;   in Loop: Header=BB41_9 Depth=1
	s_wait_alu 0xfffe
	s_or_b32 exec_lo, exec_lo, s2
	v_add_co_u32 v9, s1, v28, s16
	s_wait_alu 0xf1ff
	v_add_co_ci_u32_e64 v10, null, s17, v29, s1
	v_mov_b32_e32 v7, 0
	v_mov_b32_e32 v8, 0
	s_delay_alu instid0(VALU_DEP_3)
	v_cmp_gt_u64_e64 s1, s[14:15], v[9:10]
	v_mov_b32_e32 v9, 0
	v_mov_b32_e32 v10, 0
	s_and_saveexec_b32 s3, s1
	s_cbranch_execz .LBB41_15
; %bb.14:                               ;   in Loop: Header=BB41_9 Depth=1
	v_add_co_u32 v9, s2, v22, s8
	s_wait_alu 0xf1ff
	v_add_co_ci_u32_e64 v10, null, s9, v23, s2
	global_load_b64 v[9:10], v[9:10], off
.LBB41_15:                              ;   in Loop: Header=BB41_9 Depth=1
	s_wait_alu 0xfffe
	s_or_b32 exec_lo, exec_lo, s3
	v_add_co_u32 v11, s2, v1, s16
	s_wait_alu 0xf1ff
	v_add_co_ci_u32_e64 v12, null, s17, v21, s2
	s_delay_alu instid0(VALU_DEP_1)
	v_cmp_gt_u64_e64 s2, s[14:15], v[11:12]
	s_and_saveexec_b32 s19, s2
	s_cbranch_execz .LBB41_17
; %bb.16:                               ;   in Loop: Header=BB41_9 Depth=1
	v_add_co_u32 v7, s3, v17, s8
	s_wait_alu 0xf1ff
	v_add_co_ci_u32_e64 v8, null, s9, v18, s3
	global_load_b64 v[7:8], v[7:8], off
.LBB41_17:                              ;   in Loop: Header=BB41_9 Depth=1
	s_wait_alu 0xfffe
	s_or_b32 exec_lo, exec_lo, s19
	global_load_b64 v[11:12], v2, s[4:5]
	s_wait_loadcnt 0x0
	v_mul_f64_e32 v[11:12], s[6:7], v[11:12]
	s_and_saveexec_b32 s3, vcc_lo
	s_cbranch_execnz .LBB41_21
; %bb.18:                               ;   in Loop: Header=BB41_9 Depth=1
	s_wait_alu 0xfffe
	s_or_b32 exec_lo, exec_lo, s3
	s_and_saveexec_b32 s3, s0
	s_cbranch_execnz .LBB41_22
.LBB41_19:                              ;   in Loop: Header=BB41_9 Depth=1
	s_wait_alu 0xfffe
	s_or_b32 exec_lo, exec_lo, s3
	s_and_saveexec_b32 s0, s1
	s_cbranch_execnz .LBB41_23
.LBB41_20:                              ;   in Loop: Header=BB41_9 Depth=1
	s_wait_alu 0xfffe
	s_or_b32 exec_lo, exec_lo, s0
	s_and_saveexec_b32 s0, s2
	s_cbranch_execz .LBB41_8
	s_branch .LBB41_24
.LBB41_21:                              ;   in Loop: Header=BB41_9 Depth=1
	s_delay_alu instid0(VALU_DEP_1)
	v_mul_f64_e32 v[5:6], v[5:6], v[11:12]
	v_add_co_u32 v34, vcc_lo, v15, s8
	s_wait_alu 0xfffd
	v_add_co_ci_u32_e64 v35, null, s9, v16, vcc_lo
	global_store_b64 v[34:35], v[5:6], off
	s_wait_alu 0xfffe
	s_or_b32 exec_lo, exec_lo, s3
	s_and_saveexec_b32 s3, s0
	s_cbranch_execz .LBB41_19
.LBB41_22:                              ;   in Loop: Header=BB41_9 Depth=1
	s_delay_alu instid0(VALU_DEP_1)
	v_mul_f64_e32 v[3:4], v[3:4], v[11:12]
	v_add_co_u32 v5, vcc_lo, v32, s8
	s_wait_alu 0xfffd
	v_add_co_ci_u32_e64 v6, null, s9, v33, vcc_lo
	global_store_b64 v[5:6], v[3:4], off
	s_wait_alu 0xfffe
	s_or_b32 exec_lo, exec_lo, s3
	s_and_saveexec_b32 s0, s1
	s_cbranch_execz .LBB41_20
.LBB41_23:                              ;   in Loop: Header=BB41_9 Depth=1
	s_delay_alu instid0(VALU_DEP_1)
	v_mul_f64_e32 v[3:4], v[9:10], v[11:12]
	v_add_co_u32 v5, vcc_lo, v25, s8
	s_wait_alu 0xfffd
	v_add_co_ci_u32_e64 v6, null, s9, v26, vcc_lo
	global_store_b64 v[5:6], v[3:4], off
	s_wait_alu 0xfffe
	s_or_b32 exec_lo, exec_lo, s0
	s_and_saveexec_b32 s0, s2
	s_cbranch_execz .LBB41_8
.LBB41_24:                              ;   in Loop: Header=BB41_9 Depth=1
	s_delay_alu instid0(VALU_DEP_1)
	v_mul_f64_e32 v[3:4], v[7:8], v[11:12]
	v_add_co_u32 v5, vcc_lo, v19, s8
	s_wait_alu 0xfffd
	v_add_co_ci_u32_e64 v6, null, s9, v20, vcc_lo
	global_store_b64 v[5:6], v[3:4], off
	s_branch .LBB41_8
.LBB41_25:
	s_endpgm
	.section	.rodata,"a",@progbits
	.p2align	6, 0x0
	.amdhsa_kernel _ZN2at6native12_GLOBAL__N_125multi_tensor_apply_kernelINS1_18TensorListMetadataILi2EEENS1_27BinaryOpScalarTensorFunctorIdLi2ELi1ELi1EEEJSt10multipliesIdEPddEEEvT_T0_DpT1_
		.amdhsa_group_segment_fixed_size 0
		.amdhsa_private_segment_fixed_size 0
		.amdhsa_kernarg_size 3424
		.amdhsa_user_sgpr_count 2
		.amdhsa_user_sgpr_dispatch_ptr 0
		.amdhsa_user_sgpr_queue_ptr 0
		.amdhsa_user_sgpr_kernarg_segment_ptr 1
		.amdhsa_user_sgpr_dispatch_id 0
		.amdhsa_user_sgpr_private_segment_size 0
		.amdhsa_wavefront_size32 1
		.amdhsa_uses_dynamic_stack 0
		.amdhsa_enable_private_segment 0
		.amdhsa_system_sgpr_workgroup_id_x 1
		.amdhsa_system_sgpr_workgroup_id_y 0
		.amdhsa_system_sgpr_workgroup_id_z 0
		.amdhsa_system_sgpr_workgroup_info 0
		.amdhsa_system_vgpr_workitem_id 0
		.amdhsa_next_free_vgpr 36
		.amdhsa_next_free_sgpr 24
		.amdhsa_reserve_vcc 1
		.amdhsa_float_round_mode_32 0
		.amdhsa_float_round_mode_16_64 0
		.amdhsa_float_denorm_mode_32 3
		.amdhsa_float_denorm_mode_16_64 3
		.amdhsa_fp16_overflow 0
		.amdhsa_workgroup_processor_mode 1
		.amdhsa_memory_ordered 1
		.amdhsa_forward_progress 1
		.amdhsa_inst_pref_size 14
		.amdhsa_round_robin_scheduling 0
		.amdhsa_exception_fp_ieee_invalid_op 0
		.amdhsa_exception_fp_denorm_src 0
		.amdhsa_exception_fp_ieee_div_zero 0
		.amdhsa_exception_fp_ieee_overflow 0
		.amdhsa_exception_fp_ieee_underflow 0
		.amdhsa_exception_fp_ieee_inexact 0
		.amdhsa_exception_int_div_zero 0
	.end_amdhsa_kernel
	.section	.text._ZN2at6native12_GLOBAL__N_125multi_tensor_apply_kernelINS1_18TensorListMetadataILi2EEENS1_27BinaryOpScalarTensorFunctorIdLi2ELi1ELi1EEEJSt10multipliesIdEPddEEEvT_T0_DpT1_,"axG",@progbits,_ZN2at6native12_GLOBAL__N_125multi_tensor_apply_kernelINS1_18TensorListMetadataILi2EEENS1_27BinaryOpScalarTensorFunctorIdLi2ELi1ELi1EEEJSt10multipliesIdEPddEEEvT_T0_DpT1_,comdat
.Lfunc_end41:
	.size	_ZN2at6native12_GLOBAL__N_125multi_tensor_apply_kernelINS1_18TensorListMetadataILi2EEENS1_27BinaryOpScalarTensorFunctorIdLi2ELi1ELi1EEEJSt10multipliesIdEPddEEEvT_T0_DpT1_, .Lfunc_end41-_ZN2at6native12_GLOBAL__N_125multi_tensor_apply_kernelINS1_18TensorListMetadataILi2EEENS1_27BinaryOpScalarTensorFunctorIdLi2ELi1ELi1EEEJSt10multipliesIdEPddEEEvT_T0_DpT1_
                                        ; -- End function
	.set _ZN2at6native12_GLOBAL__N_125multi_tensor_apply_kernelINS1_18TensorListMetadataILi2EEENS1_27BinaryOpScalarTensorFunctorIdLi2ELi1ELi1EEEJSt10multipliesIdEPddEEEvT_T0_DpT1_.num_vgpr, 36
	.set _ZN2at6native12_GLOBAL__N_125multi_tensor_apply_kernelINS1_18TensorListMetadataILi2EEENS1_27BinaryOpScalarTensorFunctorIdLi2ELi1ELi1EEEJSt10multipliesIdEPddEEEvT_T0_DpT1_.num_agpr, 0
	.set _ZN2at6native12_GLOBAL__N_125multi_tensor_apply_kernelINS1_18TensorListMetadataILi2EEENS1_27BinaryOpScalarTensorFunctorIdLi2ELi1ELi1EEEJSt10multipliesIdEPddEEEvT_T0_DpT1_.numbered_sgpr, 24
	.set _ZN2at6native12_GLOBAL__N_125multi_tensor_apply_kernelINS1_18TensorListMetadataILi2EEENS1_27BinaryOpScalarTensorFunctorIdLi2ELi1ELi1EEEJSt10multipliesIdEPddEEEvT_T0_DpT1_.num_named_barrier, 0
	.set _ZN2at6native12_GLOBAL__N_125multi_tensor_apply_kernelINS1_18TensorListMetadataILi2EEENS1_27BinaryOpScalarTensorFunctorIdLi2ELi1ELi1EEEJSt10multipliesIdEPddEEEvT_T0_DpT1_.private_seg_size, 0
	.set _ZN2at6native12_GLOBAL__N_125multi_tensor_apply_kernelINS1_18TensorListMetadataILi2EEENS1_27BinaryOpScalarTensorFunctorIdLi2ELi1ELi1EEEJSt10multipliesIdEPddEEEvT_T0_DpT1_.uses_vcc, 1
	.set _ZN2at6native12_GLOBAL__N_125multi_tensor_apply_kernelINS1_18TensorListMetadataILi2EEENS1_27BinaryOpScalarTensorFunctorIdLi2ELi1ELi1EEEJSt10multipliesIdEPddEEEvT_T0_DpT1_.uses_flat_scratch, 0
	.set _ZN2at6native12_GLOBAL__N_125multi_tensor_apply_kernelINS1_18TensorListMetadataILi2EEENS1_27BinaryOpScalarTensorFunctorIdLi2ELi1ELi1EEEJSt10multipliesIdEPddEEEvT_T0_DpT1_.has_dyn_sized_stack, 0
	.set _ZN2at6native12_GLOBAL__N_125multi_tensor_apply_kernelINS1_18TensorListMetadataILi2EEENS1_27BinaryOpScalarTensorFunctorIdLi2ELi1ELi1EEEJSt10multipliesIdEPddEEEvT_T0_DpT1_.has_recursion, 0
	.set _ZN2at6native12_GLOBAL__N_125multi_tensor_apply_kernelINS1_18TensorListMetadataILi2EEENS1_27BinaryOpScalarTensorFunctorIdLi2ELi1ELi1EEEJSt10multipliesIdEPddEEEvT_T0_DpT1_.has_indirect_call, 0
	.section	.AMDGPU.csdata,"",@progbits
; Kernel info:
; codeLenInByte = 1748
; TotalNumSgprs: 26
; NumVgprs: 36
; ScratchSize: 0
; MemoryBound: 0
; FloatMode: 240
; IeeeMode: 1
; LDSByteSize: 0 bytes/workgroup (compile time only)
; SGPRBlocks: 0
; VGPRBlocks: 4
; NumSGPRsForWavesPerEU: 26
; NumVGPRsForWavesPerEU: 36
; Occupancy: 16
; WaveLimiterHint : 0
; COMPUTE_PGM_RSRC2:SCRATCH_EN: 0
; COMPUTE_PGM_RSRC2:USER_SGPR: 2
; COMPUTE_PGM_RSRC2:TRAP_HANDLER: 0
; COMPUTE_PGM_RSRC2:TGID_X_EN: 1
; COMPUTE_PGM_RSRC2:TGID_Y_EN: 0
; COMPUTE_PGM_RSRC2:TGID_Z_EN: 0
; COMPUTE_PGM_RSRC2:TIDIG_COMP_CNT: 0
	.section	.text._ZN2at6native12_GLOBAL__N_125multi_tensor_apply_kernelINS1_18TensorListMetadataILi2EEENS1_27BinaryOpScalarTensorFunctorIfLi2ELi1ELi1EEEJSt10multipliesIfEPffEEEvT_T0_DpT1_,"axG",@progbits,_ZN2at6native12_GLOBAL__N_125multi_tensor_apply_kernelINS1_18TensorListMetadataILi2EEENS1_27BinaryOpScalarTensorFunctorIfLi2ELi1ELi1EEEJSt10multipliesIfEPffEEEvT_T0_DpT1_,comdat
	.globl	_ZN2at6native12_GLOBAL__N_125multi_tensor_apply_kernelINS1_18TensorListMetadataILi2EEENS1_27BinaryOpScalarTensorFunctorIfLi2ELi1ELi1EEEJSt10multipliesIfEPffEEEvT_T0_DpT1_ ; -- Begin function _ZN2at6native12_GLOBAL__N_125multi_tensor_apply_kernelINS1_18TensorListMetadataILi2EEENS1_27BinaryOpScalarTensorFunctorIfLi2ELi1ELi1EEEJSt10multipliesIfEPffEEEvT_T0_DpT1_
	.p2align	8
	.type	_ZN2at6native12_GLOBAL__N_125multi_tensor_apply_kernelINS1_18TensorListMetadataILi2EEENS1_27BinaryOpScalarTensorFunctorIfLi2ELi1ELi1EEEJSt10multipliesIfEPffEEEvT_T0_DpT1_,@function
_ZN2at6native12_GLOBAL__N_125multi_tensor_apply_kernelINS1_18TensorListMetadataILi2EEENS1_27BinaryOpScalarTensorFunctorIfLi2ELi1ELi1EEEJSt10multipliesIfEPffEEEvT_T0_DpT1_: ; @_ZN2at6native12_GLOBAL__N_125multi_tensor_apply_kernelINS1_18TensorListMetadataILi2EEENS1_27BinaryOpScalarTensorFunctorIfLi2ELi1ELi1EEEJSt10multipliesIfEPffEEEvT_T0_DpT1_
; %bb.0:
	s_mov_b32 s2, ttmp9
	s_mov_b32 s3, 0
	s_delay_alu instid0(SALU_CYCLE_1)
	s_mul_u64 s[4:5], s[2:3], 3
	s_add_nc_u64 s[6:7], s[0:1], s[2:3]
	s_mov_b32 s15, s3
	s_add_nc_u64 s[4:5], s[6:7], s[4:5]
	s_clause 0x1
	s_load_b32 s10, s[4:5], 0x740
	s_load_u8 s2, s[0:1], ttmp9 offset:0x600
	s_mov_b32 s21, s3
	s_wait_kmcnt 0x0
	s_ashr_i32 s11, s10, 31
	s_lshl_b32 s2, s2, 3
	s_clause 0x3
	s_load_b64 s[16:17], s[0:1], s2 offset:0x0
	s_load_b64 s[18:19], s[0:1], s2 offset:0x200
	;; [unrolled: 1-line block ×3, first 2 shown]
	s_load_b96 s[4:6], s[0:1], 0xc50
	s_lshl_b64 s[8:9], s[10:11], 18
	s_lshl_b64 s[10:11], s[10:11], 16
	s_wait_kmcnt 0x0
	s_add_nc_u64 s[22:23], s[16:17], s[8:9]
	s_and_b32 s14, s18, 15
	s_and_b32 s20, s12, 3
	;; [unrolled: 1-line block ×3, first 2 shown]
	s_or_b64 s[14:15], s[14:15], s[20:21]
	s_delay_alu instid0(SALU_CYCLE_1)
	s_or_b64 s[2:3], s[14:15], s[2:3]
	s_sub_nc_u64 s[14:15], s[12:13], s[10:11]
	s_cmp_eq_u64 s[2:3], 0
	s_mov_b32 s2, -1
	s_cbranch_scc0 .LBB42_5
; %bb.1:
	v_cmp_gt_i64_e64 s2, 0x10000, s[14:15]
	v_dual_mov_b32 v2, 0 :: v_dual_lshlrev_b32 v1, 2, v0
	s_mov_b32 s3, exec_lo
	s_and_b32 s2, s2, exec_lo
	s_cselect_b32 s11, s15, 0
	s_cselect_b32 s10, s14, 0x10000
	s_delay_alu instid0(SALU_CYCLE_1)
	v_cmpx_gt_i64_e64 s[10:11], v[1:2]
	s_cbranch_execz .LBB42_4
; %bb.2:
	s_load_b32 s2, s[0:1], 0xc6c
	v_lshlrev_b32_e32 v3, 4, v0
	v_mov_b32_e32 v1, v2
	s_mov_b32 s12, 0
	s_delay_alu instid0(VALU_DEP_2) | instskip(NEXT) | instid1(VALU_DEP_1)
	v_add_co_u32 v5, s7, s8, v3
	v_add_co_ci_u32_e64 v6, null, s9, 0, s7
	s_delay_alu instid0(VALU_DEP_3)
	v_dual_mov_b32 v4, v1 :: v_dual_mov_b32 v3, v0
	s_wait_kmcnt 0x0
	s_and_b32 s7, s2, 0xffff
	s_wait_alu 0xfffe
	s_lshl_b32 s13, s7, 4
.LBB42_3:                               ; =>This Inner Loop Header: Depth=1
	v_add_co_u32 v7, vcc_lo, s16, v5
	s_wait_alu 0xfffd
	v_add_co_ci_u32_e64 v8, null, s17, v6, vcc_lo
	v_add_co_u32 v3, vcc_lo, v3, s7
	global_load_b32 v1, v2, s[4:5]
	global_load_b128 v[7:10], v[7:8], off
	s_wait_alu 0xfffd
	v_add_co_ci_u32_e64 v4, null, 0, v4, vcc_lo
	v_add_co_u32 v11, vcc_lo, s18, v5
	s_wait_alu 0xfffd
	v_add_co_ci_u32_e64 v12, null, s19, v6, vcc_lo
	s_delay_alu instid0(VALU_DEP_3) | instskip(SKIP_3) | instid1(VALU_DEP_3)
	v_lshlrev_b64_e32 v[13:14], 2, v[3:4]
	v_add_co_u32 v5, vcc_lo, v5, s13
	s_wait_alu 0xfffd
	v_add_co_ci_u32_e64 v6, null, 0, v6, vcc_lo
	v_cmp_le_i64_e64 s2, s[10:11], v[13:14]
	s_or_b32 s12, s2, s12
	s_wait_loadcnt 0x1
	v_mul_f32_e32 v1, s6, v1
	s_wait_loadcnt 0x0
	s_delay_alu instid0(VALU_DEP_1)
	v_mul_f32_e32 v7, v7, v1
	v_mul_f32_e32 v8, v8, v1
	;; [unrolled: 1-line block ×4, first 2 shown]
	global_store_b128 v[11:12], v[7:10], off
	s_wait_alu 0xfffe
	s_and_not1_b32 exec_lo, exec_lo, s12
	s_cbranch_execnz .LBB42_3
.LBB42_4:
	s_or_b32 exec_lo, exec_lo, s3
	s_mov_b32 s2, 0
.LBB42_5:
	s_delay_alu instid0(SALU_CYCLE_1)
	s_and_not1_b32 vcc_lo, exec_lo, s2
	s_wait_alu 0xfffe
	s_cbranch_vccnz .LBB42_25
; %bb.6:
	v_cmp_lt_i64_e64 s2, s[14:15], 1
	s_and_b32 vcc_lo, exec_lo, s2
	s_wait_alu 0xfffe
	s_cbranch_vccnz .LBB42_25
; %bb.7:
	s_load_b32 s0, s[0:1], 0xc6c
	v_cmp_gt_i64_e64 s1, 0x10000, s[14:15]
	v_dual_mov_b32 v2, 0 :: v_dual_lshlrev_b32 v1, 2, v0
	v_cmp_gt_u64_e64 s2, 0x10000, s[14:15]
	s_mov_b32 s11, 0
	s_and_b32 s1, s1, exec_lo
	v_add_co_u32 v5, s1, s18, v1
	v_add_co_u32 v3, s3, s16, v1
	s_cselect_b32 s13, s15, 0
	s_cselect_b32 s12, s14, 0x10000
	v_add_co_ci_u32_e64 v6, null, s19, 0, s1
	v_add_co_ci_u32_e64 v4, null, s17, 0, s3
	s_wait_kmcnt 0x0
	s_and_b32 s0, s0, 0xffff
	s_and_b32 s1, s2, exec_lo
	s_cselect_b32 s15, s15, 0
	s_cselect_b32 s14, s14, 0x10000
	s_wait_alu 0xfffe
	s_mul_i32 s2, s0, 3
	s_lshl_b32 s3, s0, 3
	v_mad_co_u64_u32 v[9:10], null, s0, 12, v[1:2]
	s_wait_alu 0xfffe
	v_add_co_u32 v15, s3, s3, v1
	v_add_co_u32 v1, s2, s2, v0
	s_wait_alu 0xf1ff
	v_add_co_ci_u32_e64 v11, null, 0, 0, s2
	v_add_co_u32 v14, s2, v0, s0
	s_lshl_b32 s1, s0, 1
	v_add_co_u32 v7, vcc_lo, s16, v9
	v_lshlrev_b32_e32 v22, 2, v14
	v_add_co_ci_u32_e64 v16, null, 0, 0, s3
	s_wait_alu 0xfffd
	v_add_co_ci_u32_e64 v8, null, s17, v10, vcc_lo
	v_add_co_u32 v9, vcc_lo, s18, v9
	s_wait_alu 0xfffe
	v_add_co_u32 v18, s1, s1, v0
	s_wait_alu 0xfffd
	v_add_co_ci_u32_e64 v10, null, s19, v10, vcc_lo
	v_add_co_u32 v12, vcc_lo, s16, v15
	s_wait_alu 0xf1ff
	v_add_co_ci_u32_e64 v19, null, 0, 0, s1
	v_add_co_u32 v20, s1, s16, v22
	s_wait_alu 0xfffd
	v_add_co_ci_u32_e64 v13, null, s17, v16, vcc_lo
	v_add_co_u32 v15, vcc_lo, s18, v15
	s_wait_alu 0xf1ff
	v_add_co_ci_u32_e64 v21, null, s17, 0, s1
	v_add_co_u32 v22, s1, s18, v22
	s_wait_alu 0xfffd
	v_add_co_ci_u32_e64 v16, null, s19, v16, vcc_lo
	v_add_co_ci_u32_e64 v17, null, 0, 0, s2
	s_wait_alu 0xf1ff
	v_add_co_ci_u32_e64 v23, null, s19, 0, s1
	s_lshl_b32 s10, s0, 2
	s_lshl_b32 s7, s0, 4
	s_mov_b64 s[16:17], 0
	s_branch .LBB42_9
.LBB42_8:                               ;   in Loop: Header=BB42_9 Depth=1
	s_wait_alu 0xfffe
	s_or_b32 exec_lo, exec_lo, s0
	v_add_co_u32 v3, vcc_lo, v3, s7
	s_wait_alu 0xfffd
	v_add_co_ci_u32_e64 v4, null, 0, v4, vcc_lo
	v_add_co_u32 v5, vcc_lo, v5, s7
	s_wait_alu 0xfffd
	v_add_co_ci_u32_e64 v6, null, 0, v6, vcc_lo
	;; [unrolled: 3-line block ×5, first 2 shown]
	v_add_co_u32 v15, vcc_lo, v15, s7
	s_add_nc_u64 s[16:17], s[16:17], s[10:11]
	s_wait_alu 0xfffd
	v_add_co_ci_u32_e64 v16, null, 0, v16, vcc_lo
	v_add_co_u32 v20, vcc_lo, v20, s7
	s_wait_alu 0xfffe
	v_cmp_ge_i64_e64 s0, s[16:17], s[12:13]
	s_wait_alu 0xfffd
	v_add_co_ci_u32_e64 v21, null, 0, v21, vcc_lo
	v_add_co_u32 v22, vcc_lo, v22, s7
	s_wait_alu 0xfffd
	v_add_co_ci_u32_e64 v23, null, 0, v23, vcc_lo
	s_and_b32 vcc_lo, exec_lo, s0
	s_wait_alu 0xfffe
	s_cbranch_vccnz .LBB42_25
.LBB42_9:                               ; =>This Inner Loop Header: Depth=1
	s_wait_alu 0xfffe
	v_add_co_u32 v24, s0, v0, s16
	s_wait_alu 0xf1ff
	v_add_co_ci_u32_e64 v25, null, 0, s17, s0
	s_delay_alu instid0(VALU_DEP_1)
	v_cmp_gt_u64_e32 vcc_lo, s[14:15], v[24:25]
	v_mov_b32_e32 v25, 0
	s_and_saveexec_b32 s1, vcc_lo
	s_cbranch_execz .LBB42_11
; %bb.10:                               ;   in Loop: Header=BB42_9 Depth=1
	v_add_co_u32 v24, s0, v3, s8
	s_wait_alu 0xf1ff
	v_add_co_ci_u32_e64 v25, null, s9, v4, s0
	global_load_b32 v25, v[24:25], off
.LBB42_11:                              ;   in Loop: Header=BB42_9 Depth=1
	s_wait_alu 0xfffe
	s_or_b32 exec_lo, exec_lo, s1
	v_add_co_u32 v26, s0, v14, s16
	s_wait_alu 0xf1ff
	v_add_co_ci_u32_e64 v27, null, s17, v17, s0
	v_mov_b32_e32 v24, 0
	s_delay_alu instid0(VALU_DEP_2)
	v_cmp_gt_u64_e64 s0, s[14:15], v[26:27]
	v_mov_b32_e32 v26, 0
	s_and_saveexec_b32 s2, s0
	s_cbranch_execz .LBB42_13
; %bb.12:                               ;   in Loop: Header=BB42_9 Depth=1
	v_add_co_u32 v26, s1, v20, s8
	s_wait_alu 0xf1ff
	v_add_co_ci_u32_e64 v27, null, s9, v21, s1
	global_load_b32 v26, v[26:27], off
.LBB42_13:                              ;   in Loop: Header=BB42_9 Depth=1
	s_wait_alu 0xfffe
	s_or_b32 exec_lo, exec_lo, s2
	v_add_co_u32 v27, s1, v18, s16
	s_wait_alu 0xf1ff
	v_add_co_ci_u32_e64 v28, null, s17, v19, s1
	s_delay_alu instid0(VALU_DEP_1)
	v_cmp_gt_u64_e64 s1, s[14:15], v[27:28]
	s_and_saveexec_b32 s3, s1
	s_cbranch_execz .LBB42_15
; %bb.14:                               ;   in Loop: Header=BB42_9 Depth=1
	v_add_co_u32 v27, s2, v12, s8
	s_wait_alu 0xf1ff
	v_add_co_ci_u32_e64 v28, null, s9, v13, s2
	global_load_b32 v24, v[27:28], off
.LBB42_15:                              ;   in Loop: Header=BB42_9 Depth=1
	s_wait_alu 0xfffe
	s_or_b32 exec_lo, exec_lo, s3
	v_add_co_u32 v27, s2, v1, s16
	s_wait_alu 0xf1ff
	v_add_co_ci_u32_e64 v28, null, s17, v11, s2
	s_delay_alu instid0(VALU_DEP_1)
	v_cmp_gt_u64_e64 s2, s[14:15], v[27:28]
	v_mov_b32_e32 v27, 0
	s_and_saveexec_b32 s18, s2
	s_cbranch_execz .LBB42_17
; %bb.16:                               ;   in Loop: Header=BB42_9 Depth=1
	v_add_co_u32 v27, s3, v7, s8
	s_wait_alu 0xf1ff
	v_add_co_ci_u32_e64 v28, null, s9, v8, s3
	global_load_b32 v27, v[27:28], off
.LBB42_17:                              ;   in Loop: Header=BB42_9 Depth=1
	s_wait_alu 0xfffe
	s_or_b32 exec_lo, exec_lo, s18
	global_load_b32 v28, v2, s[4:5]
	s_wait_loadcnt 0x0
	v_mul_f32_e32 v28, s6, v28
	s_and_saveexec_b32 s3, vcc_lo
	s_cbranch_execnz .LBB42_21
; %bb.18:                               ;   in Loop: Header=BB42_9 Depth=1
	s_wait_alu 0xfffe
	s_or_b32 exec_lo, exec_lo, s3
	s_and_saveexec_b32 s3, s0
	s_cbranch_execnz .LBB42_22
.LBB42_19:                              ;   in Loop: Header=BB42_9 Depth=1
	s_wait_alu 0xfffe
	s_or_b32 exec_lo, exec_lo, s3
	s_and_saveexec_b32 s0, s1
	s_cbranch_execnz .LBB42_23
.LBB42_20:                              ;   in Loop: Header=BB42_9 Depth=1
	s_wait_alu 0xfffe
	s_or_b32 exec_lo, exec_lo, s0
	s_and_saveexec_b32 s0, s2
	s_cbranch_execz .LBB42_8
	s_branch .LBB42_24
.LBB42_21:                              ;   in Loop: Header=BB42_9 Depth=1
	v_add_co_u32 v29, vcc_lo, v5, s8
	s_wait_alu 0xfffd
	v_add_co_ci_u32_e64 v30, null, s9, v6, vcc_lo
	v_mul_f32_e32 v25, v25, v28
	global_store_b32 v[29:30], v25, off
	s_wait_alu 0xfffe
	s_or_b32 exec_lo, exec_lo, s3
	s_and_saveexec_b32 s3, s0
	s_cbranch_execz .LBB42_19
.LBB42_22:                              ;   in Loop: Header=BB42_9 Depth=1
	v_add_co_u32 v25, vcc_lo, v22, s8
	v_mul_f32_e32 v29, v26, v28
	s_wait_alu 0xfffd
	v_add_co_ci_u32_e64 v26, null, s9, v23, vcc_lo
	global_store_b32 v[25:26], v29, off
	s_wait_alu 0xfffe
	s_or_b32 exec_lo, exec_lo, s3
	s_and_saveexec_b32 s0, s1
	s_cbranch_execz .LBB42_20
.LBB42_23:                              ;   in Loop: Header=BB42_9 Depth=1
	v_mul_f32_e32 v26, v24, v28
	v_add_co_u32 v24, vcc_lo, v15, s8
	s_wait_alu 0xfffd
	v_add_co_ci_u32_e64 v25, null, s9, v16, vcc_lo
	global_store_b32 v[24:25], v26, off
	s_wait_alu 0xfffe
	s_or_b32 exec_lo, exec_lo, s0
	s_and_saveexec_b32 s0, s2
	s_cbranch_execz .LBB42_8
.LBB42_24:                              ;   in Loop: Header=BB42_9 Depth=1
	v_add_co_u32 v24, vcc_lo, v9, s8
	v_mul_f32_e32 v26, v27, v28
	s_wait_alu 0xfffd
	v_add_co_ci_u32_e64 v25, null, s9, v10, vcc_lo
	global_store_b32 v[24:25], v26, off
	s_branch .LBB42_8
.LBB42_25:
	s_endpgm
	.section	.rodata,"a",@progbits
	.p2align	6, 0x0
	.amdhsa_kernel _ZN2at6native12_GLOBAL__N_125multi_tensor_apply_kernelINS1_18TensorListMetadataILi2EEENS1_27BinaryOpScalarTensorFunctorIfLi2ELi1ELi1EEEJSt10multipliesIfEPffEEEvT_T0_DpT1_
		.amdhsa_group_segment_fixed_size 0
		.amdhsa_private_segment_fixed_size 0
		.amdhsa_kernarg_size 3424
		.amdhsa_user_sgpr_count 2
		.amdhsa_user_sgpr_dispatch_ptr 0
		.amdhsa_user_sgpr_queue_ptr 0
		.amdhsa_user_sgpr_kernarg_segment_ptr 1
		.amdhsa_user_sgpr_dispatch_id 0
		.amdhsa_user_sgpr_private_segment_size 0
		.amdhsa_wavefront_size32 1
		.amdhsa_uses_dynamic_stack 0
		.amdhsa_enable_private_segment 0
		.amdhsa_system_sgpr_workgroup_id_x 1
		.amdhsa_system_sgpr_workgroup_id_y 0
		.amdhsa_system_sgpr_workgroup_id_z 0
		.amdhsa_system_sgpr_workgroup_info 0
		.amdhsa_system_vgpr_workitem_id 0
		.amdhsa_next_free_vgpr 31
		.amdhsa_next_free_sgpr 24
		.amdhsa_reserve_vcc 1
		.amdhsa_float_round_mode_32 0
		.amdhsa_float_round_mode_16_64 0
		.amdhsa_float_denorm_mode_32 3
		.amdhsa_float_denorm_mode_16_64 3
		.amdhsa_fp16_overflow 0
		.amdhsa_workgroup_processor_mode 1
		.amdhsa_memory_ordered 1
		.amdhsa_forward_progress 1
		.amdhsa_inst_pref_size 14
		.amdhsa_round_robin_scheduling 0
		.amdhsa_exception_fp_ieee_invalid_op 0
		.amdhsa_exception_fp_denorm_src 0
		.amdhsa_exception_fp_ieee_div_zero 0
		.amdhsa_exception_fp_ieee_overflow 0
		.amdhsa_exception_fp_ieee_underflow 0
		.amdhsa_exception_fp_ieee_inexact 0
		.amdhsa_exception_int_div_zero 0
	.end_amdhsa_kernel
	.section	.text._ZN2at6native12_GLOBAL__N_125multi_tensor_apply_kernelINS1_18TensorListMetadataILi2EEENS1_27BinaryOpScalarTensorFunctorIfLi2ELi1ELi1EEEJSt10multipliesIfEPffEEEvT_T0_DpT1_,"axG",@progbits,_ZN2at6native12_GLOBAL__N_125multi_tensor_apply_kernelINS1_18TensorListMetadataILi2EEENS1_27BinaryOpScalarTensorFunctorIfLi2ELi1ELi1EEEJSt10multipliesIfEPffEEEvT_T0_DpT1_,comdat
.Lfunc_end42:
	.size	_ZN2at6native12_GLOBAL__N_125multi_tensor_apply_kernelINS1_18TensorListMetadataILi2EEENS1_27BinaryOpScalarTensorFunctorIfLi2ELi1ELi1EEEJSt10multipliesIfEPffEEEvT_T0_DpT1_, .Lfunc_end42-_ZN2at6native12_GLOBAL__N_125multi_tensor_apply_kernelINS1_18TensorListMetadataILi2EEENS1_27BinaryOpScalarTensorFunctorIfLi2ELi1ELi1EEEJSt10multipliesIfEPffEEEvT_T0_DpT1_
                                        ; -- End function
	.set _ZN2at6native12_GLOBAL__N_125multi_tensor_apply_kernelINS1_18TensorListMetadataILi2EEENS1_27BinaryOpScalarTensorFunctorIfLi2ELi1ELi1EEEJSt10multipliesIfEPffEEEvT_T0_DpT1_.num_vgpr, 31
	.set _ZN2at6native12_GLOBAL__N_125multi_tensor_apply_kernelINS1_18TensorListMetadataILi2EEENS1_27BinaryOpScalarTensorFunctorIfLi2ELi1ELi1EEEJSt10multipliesIfEPffEEEvT_T0_DpT1_.num_agpr, 0
	.set _ZN2at6native12_GLOBAL__N_125multi_tensor_apply_kernelINS1_18TensorListMetadataILi2EEENS1_27BinaryOpScalarTensorFunctorIfLi2ELi1ELi1EEEJSt10multipliesIfEPffEEEvT_T0_DpT1_.numbered_sgpr, 24
	.set _ZN2at6native12_GLOBAL__N_125multi_tensor_apply_kernelINS1_18TensorListMetadataILi2EEENS1_27BinaryOpScalarTensorFunctorIfLi2ELi1ELi1EEEJSt10multipliesIfEPffEEEvT_T0_DpT1_.num_named_barrier, 0
	.set _ZN2at6native12_GLOBAL__N_125multi_tensor_apply_kernelINS1_18TensorListMetadataILi2EEENS1_27BinaryOpScalarTensorFunctorIfLi2ELi1ELi1EEEJSt10multipliesIfEPffEEEvT_T0_DpT1_.private_seg_size, 0
	.set _ZN2at6native12_GLOBAL__N_125multi_tensor_apply_kernelINS1_18TensorListMetadataILi2EEENS1_27BinaryOpScalarTensorFunctorIfLi2ELi1ELi1EEEJSt10multipliesIfEPffEEEvT_T0_DpT1_.uses_vcc, 1
	.set _ZN2at6native12_GLOBAL__N_125multi_tensor_apply_kernelINS1_18TensorListMetadataILi2EEENS1_27BinaryOpScalarTensorFunctorIfLi2ELi1ELi1EEEJSt10multipliesIfEPffEEEvT_T0_DpT1_.uses_flat_scratch, 0
	.set _ZN2at6native12_GLOBAL__N_125multi_tensor_apply_kernelINS1_18TensorListMetadataILi2EEENS1_27BinaryOpScalarTensorFunctorIfLi2ELi1ELi1EEEJSt10multipliesIfEPffEEEvT_T0_DpT1_.has_dyn_sized_stack, 0
	.set _ZN2at6native12_GLOBAL__N_125multi_tensor_apply_kernelINS1_18TensorListMetadataILi2EEENS1_27BinaryOpScalarTensorFunctorIfLi2ELi1ELi1EEEJSt10multipliesIfEPffEEEvT_T0_DpT1_.has_recursion, 0
	.set _ZN2at6native12_GLOBAL__N_125multi_tensor_apply_kernelINS1_18TensorListMetadataILi2EEENS1_27BinaryOpScalarTensorFunctorIfLi2ELi1ELi1EEEJSt10multipliesIfEPffEEEvT_T0_DpT1_.has_indirect_call, 0
	.section	.AMDGPU.csdata,"",@progbits
; Kernel info:
; codeLenInByte = 1684
; TotalNumSgprs: 26
; NumVgprs: 31
; ScratchSize: 0
; MemoryBound: 0
; FloatMode: 240
; IeeeMode: 1
; LDSByteSize: 0 bytes/workgroup (compile time only)
; SGPRBlocks: 0
; VGPRBlocks: 3
; NumSGPRsForWavesPerEU: 26
; NumVGPRsForWavesPerEU: 31
; Occupancy: 16
; WaveLimiterHint : 0
; COMPUTE_PGM_RSRC2:SCRATCH_EN: 0
; COMPUTE_PGM_RSRC2:USER_SGPR: 2
; COMPUTE_PGM_RSRC2:TRAP_HANDLER: 0
; COMPUTE_PGM_RSRC2:TGID_X_EN: 1
; COMPUTE_PGM_RSRC2:TGID_Y_EN: 0
; COMPUTE_PGM_RSRC2:TGID_Z_EN: 0
; COMPUTE_PGM_RSRC2:TIDIG_COMP_CNT: 0
	.section	.text._ZN2at6native12_GLOBAL__N_125multi_tensor_apply_kernelINS1_18TensorListMetadataILi2EEENS1_27BinaryOpScalarTensorFunctorIN3c107complexIdEELi2ELi1ELi1EEEJSt10multipliesIS8_EPS8_S8_EEEvT_T0_DpT1_,"axG",@progbits,_ZN2at6native12_GLOBAL__N_125multi_tensor_apply_kernelINS1_18TensorListMetadataILi2EEENS1_27BinaryOpScalarTensorFunctorIN3c107complexIdEELi2ELi1ELi1EEEJSt10multipliesIS8_EPS8_S8_EEEvT_T0_DpT1_,comdat
	.globl	_ZN2at6native12_GLOBAL__N_125multi_tensor_apply_kernelINS1_18TensorListMetadataILi2EEENS1_27BinaryOpScalarTensorFunctorIN3c107complexIdEELi2ELi1ELi1EEEJSt10multipliesIS8_EPS8_S8_EEEvT_T0_DpT1_ ; -- Begin function _ZN2at6native12_GLOBAL__N_125multi_tensor_apply_kernelINS1_18TensorListMetadataILi2EEENS1_27BinaryOpScalarTensorFunctorIN3c107complexIdEELi2ELi1ELi1EEEJSt10multipliesIS8_EPS8_S8_EEEvT_T0_DpT1_
	.p2align	8
	.type	_ZN2at6native12_GLOBAL__N_125multi_tensor_apply_kernelINS1_18TensorListMetadataILi2EEENS1_27BinaryOpScalarTensorFunctorIN3c107complexIdEELi2ELi1ELi1EEEJSt10multipliesIS8_EPS8_S8_EEEvT_T0_DpT1_,@function
_ZN2at6native12_GLOBAL__N_125multi_tensor_apply_kernelINS1_18TensorListMetadataILi2EEENS1_27BinaryOpScalarTensorFunctorIN3c107complexIdEELi2ELi1ELi1EEEJSt10multipliesIS8_EPS8_S8_EEEvT_T0_DpT1_: ; @_ZN2at6native12_GLOBAL__N_125multi_tensor_apply_kernelINS1_18TensorListMetadataILi2EEENS1_27BinaryOpScalarTensorFunctorIN3c107complexIdEELi2ELi1ELi1EEEJSt10multipliesIS8_EPS8_S8_EEEvT_T0_DpT1_
; %bb.0:
	s_mov_b32 s2, ttmp9
	s_mov_b32 s3, 0
	s_delay_alu instid0(SALU_CYCLE_1)
	s_mul_u64 s[4:5], s[2:3], 3
	s_add_nc_u64 s[6:7], s[0:1], s[2:3]
	s_mov_b32 s21, s3
	s_add_nc_u64 s[4:5], s[6:7], s[4:5]
	s_clause 0x1
	s_load_b32 s14, s[4:5], 0x740
	s_load_u8 s2, s[0:1], ttmp9 offset:0x600
	s_wait_kmcnt 0x0
	s_ashr_i32 s15, s14, 31
	s_lshl_b32 s2, s2, 3
	s_clause 0x4
	s_load_b64 s[10:11], s[0:1], s2 offset:0x0
	s_load_b64 s[12:13], s[0:1], s2 offset:0x200
	;; [unrolled: 1-line block ×3, first 2 shown]
	s_load_b128 s[4:7], s[0:1], 0xc60
	s_load_b64 s[8:9], s[0:1], 0xc50
	s_lshl_b64 s[18:19], s[14:15], 20
	s_lshl_b64 s[14:15], s[14:15], 16
	s_wait_kmcnt 0x0
	s_add_nc_u64 s[10:11], s[10:11], s[18:19]
	s_add_nc_u64 s[12:13], s[12:13], s[18:19]
	s_and_b32 s18, s16, 3
	s_and_b32 s20, s12, 63
	s_mov_b32 s19, s3
	s_and_b32 s2, s10, 63
	s_or_b64 s[18:19], s[20:21], s[18:19]
	s_delay_alu instid0(SALU_CYCLE_1)
	s_or_b64 s[18:19], s[18:19], s[2:3]
	s_sub_nc_u64 s[2:3], s[16:17], s[14:15]
	s_cmp_eq_u64 s[18:19], 0
	s_mov_b32 s14, -1
	s_cbranch_scc0 .LBB43_5
; %bb.1:
	v_cmp_gt_i64_e64 s14, 0x10000, s[2:3]
	v_dual_mov_b32 v2, 0 :: v_dual_lshlrev_b32 v1, 2, v0
	s_mov_b32 s22, exec_lo
	s_and_b32 s14, s14, exec_lo
	s_cselect_b32 s15, s3, 0
	s_cselect_b32 s14, s2, 0x10000
	s_delay_alu instid0(SALU_CYCLE_1)
	v_cmpx_gt_i64_e64 s[14:15], v[1:2]
	s_cbranch_execz .LBB43_4
; %bb.2:
	s_load_b32 s16, s[0:1], 0xc7c
	v_mov_b32_e32 v1, v2
	v_lshlrev_b32_e32 v5, 6, v0
	s_mov_b32 s17, 0
	s_mov_b64 s[18:19], s[10:11]
	s_mov_b32 s24, s17
	v_dual_mov_b32 v4, v1 :: v_dual_mov_b32 v3, v0
	s_mov_b64 s[20:21], s[12:13]
	s_wait_kmcnt 0x0
	s_and_b32 s23, s16, 0xffff
	s_delay_alu instid0(SALU_CYCLE_1)
	s_lshl_b32 s16, s23, 6
.LBB43_3:                               ; =>This Inner Loop Header: Depth=1
	global_load_b128 v[6:9], v2, s[8:9]
	v_add_co_u32 v22, s25, s18, v5
	s_wait_alu 0xf1ff
	v_add_co_ci_u32_e64 v23, null, s19, 0, s25
	v_add_co_u32 v3, vcc_lo, v3, s23
	s_clause 0x3
	global_load_b128 v[10:13], v[22:23], off
	global_load_b128 v[14:17], v[22:23], off offset:16
	global_load_b128 v[18:21], v[22:23], off offset:32
	;; [unrolled: 1-line block ×3, first 2 shown]
	s_wait_alu 0xfffd
	v_add_co_ci_u32_e64 v4, null, 0, v4, vcc_lo
	s_add_nc_u64 s[18:19], s[18:19], s[16:17]
	s_wait_loadcnt 0x4
	v_mul_f64_e32 v[26:27], s[4:5], v[8:9]
	v_mul_f64_e32 v[8:9], s[6:7], v[8:9]
	s_delay_alu instid0(VALU_DEP_2) | instskip(NEXT) | instid1(VALU_DEP_2)
	v_fma_f64 v[26:27], s[6:7], v[6:7], v[26:27]
	v_fma_f64 v[28:29], s[4:5], v[6:7], -v[8:9]
	s_wait_loadcnt 0x3
	s_delay_alu instid0(VALU_DEP_2)
	v_mul_f64_e32 v[6:7], v[12:13], v[26:27]
	v_mul_f64_e32 v[8:9], v[10:11], v[26:27]
	s_wait_loadcnt 0x2
	v_mul_f64_e32 v[30:31], v[16:17], v[26:27]
	v_mul_f64_e32 v[32:33], v[14:15], v[26:27]
	s_wait_loadcnt 0x1
	;; [unrolled: 3-line block ×3, first 2 shown]
	v_mul_f64_e32 v[38:39], v[24:25], v[26:27]
	v_mul_f64_e32 v[26:27], v[22:23], v[26:27]
	v_fma_f64 v[6:7], v[10:11], v[28:29], -v[6:7]
	v_fma_f64 v[8:9], v[12:13], v[28:29], v[8:9]
	v_fma_f64 v[10:11], v[14:15], v[28:29], -v[30:31]
	v_fma_f64 v[12:13], v[16:17], v[28:29], v[32:33]
	;; [unrolled: 2-line block ×4, first 2 shown]
	v_lshlrev_b64_e32 v[22:23], 2, v[3:4]
	v_add_co_u32 v24, s25, s20, v5
	s_wait_alu 0xf1ff
	v_add_co_ci_u32_e64 v25, null, s21, 0, s25
	s_add_nc_u64 s[20:21], s[20:21], s[16:17]
	v_cmp_le_i64_e32 vcc_lo, s[14:15], v[22:23]
	s_clause 0x3
	global_store_b128 v[24:25], v[6:9], off
	global_store_b128 v[24:25], v[10:13], off offset:16
	global_store_b128 v[24:25], v[14:17], off offset:32
	;; [unrolled: 1-line block ×3, first 2 shown]
	s_or_b32 s24, vcc_lo, s24
	s_wait_alu 0xfffe
	s_and_not1_b32 exec_lo, exec_lo, s24
	s_cbranch_execnz .LBB43_3
.LBB43_4:
	s_or_b32 exec_lo, exec_lo, s22
	s_mov_b32 s14, 0
.LBB43_5:
	s_wait_alu 0xfffe
	s_and_not1_b32 vcc_lo, exec_lo, s14
	s_wait_alu 0xfffe
	s_cbranch_vccnz .LBB43_25
; %bb.6:
	v_cmp_lt_i64_e64 s14, s[2:3], 1
	s_and_b32 vcc_lo, exec_lo, s14
	s_wait_alu 0xfffe
	s_cbranch_vccnz .LBB43_25
; %bb.7:
	s_load_b32 s0, s[0:1], 0xc7c
	v_cmp_gt_i64_e64 s1, 0x10000, s[2:3]
	v_cmp_gt_u64_e64 s14, 0x10000, s[2:3]
	v_mov_b32_e32 v29, 0
	s_mov_b32 s15, 0
	s_mov_b64 s[20:21], 0
	s_and_b32 s1, s1, exec_lo
	s_cselect_b32 s17, s3, 0
	s_cselect_b32 s16, s2, 0x10000
	s_wait_kmcnt 0x0
	s_and_b32 s22, s0, 0xffff
	s_and_b32 s0, s14, exec_lo
	s_cselect_b32 s19, s3, 0
	s_cselect_b32 s18, s2, 0x10000
	s_wait_alu 0xfffe
	s_lshl_b32 s23, s22, 1
	s_mul_i32 s24, s22, 3
	s_lshl_b32 s14, s22, 2
	s_branch .LBB43_9
.LBB43_8:                               ;   in Loop: Header=BB43_9 Depth=1
	s_wait_alu 0xfffe
	s_or_b32 exec_lo, exec_lo, s0
	s_add_nc_u64 s[20:21], s[20:21], s[14:15]
	s_wait_alu 0xfffe
	v_cmp_ge_i64_e64 s0, s[20:21], s[16:17]
	s_and_b32 vcc_lo, exec_lo, s0
	s_wait_alu 0xfffe
	s_cbranch_vccnz .LBB43_25
.LBB43_9:                               ; =>This Inner Loop Header: Depth=1
	v_add_co_u32 v17, s0, s20, v0
	s_wait_alu 0xf1ff
	v_add_co_ci_u32_e64 v18, null, s21, 0, s0
	v_mov_b32_e32 v3, 0
	v_dual_mov_b32 v4, 0 :: v_dual_mov_b32 v11, 0
	s_delay_alu instid0(VALU_DEP_3)
	v_cmp_gt_u64_e32 vcc_lo, s[18:19], v[17:18]
	v_dual_mov_b32 v9, 0 :: v_dual_mov_b32 v12, 0
	v_mov_b32_e32 v10, 0
	s_and_saveexec_b32 s1, vcc_lo
	s_cbranch_execz .LBB43_11
; %bb.10:                               ;   in Loop: Header=BB43_9 Depth=1
	v_lshlrev_b64_e32 v[1:2], 4, v[17:18]
	s_delay_alu instid0(VALU_DEP_1) | instskip(SKIP_1) | instid1(VALU_DEP_2)
	v_add_co_u32 v1, s0, s10, v1
	s_wait_alu 0xf1ff
	v_add_co_ci_u32_e64 v2, null, s11, v2, s0
	global_load_b128 v[9:12], v[1:2], off
.LBB43_11:                              ;   in Loop: Header=BB43_9 Depth=1
	s_wait_alu 0xfffe
	s_or_b32 exec_lo, exec_lo, s1
	v_add_co_u32 v19, s0, v17, s22
	s_wait_alu 0xf1ff
	v_add_co_ci_u32_e64 v20, null, 0, v18, s0
	v_mov_b32_e32 v1, 0
	v_mov_b32_e32 v2, 0
	s_delay_alu instid0(VALU_DEP_3)
	v_cmp_gt_u64_e64 s0, s[18:19], v[19:20]
	s_and_saveexec_b32 s2, s0
	s_cbranch_execz .LBB43_13
; %bb.12:                               ;   in Loop: Header=BB43_9 Depth=1
	v_lshlrev_b64_e32 v[1:2], 4, v[19:20]
	s_delay_alu instid0(VALU_DEP_1) | instskip(SKIP_1) | instid1(VALU_DEP_2)
	v_add_co_u32 v1, s1, s10, v1
	s_wait_alu 0xf1ff
	v_add_co_ci_u32_e64 v2, null, s11, v2, s1
	global_load_b128 v[1:4], v[1:2], off
.LBB43_13:                              ;   in Loop: Header=BB43_9 Depth=1
	s_wait_alu 0xfffe
	s_or_b32 exec_lo, exec_lo, s2
	v_add_co_u32 v21, s1, v17, s23
	s_wait_alu 0xf1ff
	v_add_co_ci_u32_e64 v22, null, 0, v18, s1
	v_mov_b32_e32 v7, 0
	v_dual_mov_b32 v8, 0 :: v_dual_mov_b32 v15, 0
	s_delay_alu instid0(VALU_DEP_3)
	v_cmp_gt_u64_e64 s1, s[18:19], v[21:22]
	v_dual_mov_b32 v13, 0 :: v_dual_mov_b32 v16, 0
	v_mov_b32_e32 v14, 0
	s_and_saveexec_b32 s3, s1
	s_cbranch_execz .LBB43_15
; %bb.14:                               ;   in Loop: Header=BB43_9 Depth=1
	v_lshlrev_b64_e32 v[5:6], 4, v[21:22]
	s_delay_alu instid0(VALU_DEP_1) | instskip(SKIP_1) | instid1(VALU_DEP_2)
	v_add_co_u32 v5, s2, s10, v5
	s_wait_alu 0xf1ff
	v_add_co_ci_u32_e64 v6, null, s11, v6, s2
	global_load_b128 v[13:16], v[5:6], off
.LBB43_15:                              ;   in Loop: Header=BB43_9 Depth=1
	s_wait_alu 0xfffe
	s_or_b32 exec_lo, exec_lo, s3
	v_add_co_u32 v23, s2, v17, s24
	s_wait_alu 0xf1ff
	v_add_co_ci_u32_e64 v24, null, 0, v18, s2
	v_mov_b32_e32 v5, 0
	v_mov_b32_e32 v6, 0
	s_delay_alu instid0(VALU_DEP_3)
	v_cmp_gt_u64_e64 s2, s[18:19], v[23:24]
	s_and_saveexec_b32 s25, s2
	s_cbranch_execz .LBB43_17
; %bb.16:                               ;   in Loop: Header=BB43_9 Depth=1
	v_lshlrev_b64_e32 v[5:6], 4, v[23:24]
	s_delay_alu instid0(VALU_DEP_1) | instskip(SKIP_1) | instid1(VALU_DEP_2)
	v_add_co_u32 v5, s3, s10, v5
	s_wait_alu 0xf1ff
	v_add_co_ci_u32_e64 v6, null, s11, v6, s3
	global_load_b128 v[5:8], v[5:6], off
.LBB43_17:                              ;   in Loop: Header=BB43_9 Depth=1
	s_wait_alu 0xfffe
	s_or_b32 exec_lo, exec_lo, s25
	global_load_b128 v[30:33], v29, s[8:9]
	s_wait_loadcnt 0x0
	v_mul_f64_e32 v[25:26], s[6:7], v[32:33]
	v_mul_f64_e32 v[27:28], s[4:5], v[32:33]
	s_delay_alu instid0(VALU_DEP_2) | instskip(NEXT) | instid1(VALU_DEP_2)
	v_fma_f64 v[25:26], s[4:5], v[30:31], -v[25:26]
	v_fma_f64 v[27:28], s[6:7], v[30:31], v[27:28]
	s_and_saveexec_b32 s3, vcc_lo
	s_cbranch_execnz .LBB43_21
; %bb.18:                               ;   in Loop: Header=BB43_9 Depth=1
	s_wait_alu 0xfffe
	s_or_b32 exec_lo, exec_lo, s3
	s_and_saveexec_b32 s3, s0
	s_cbranch_execnz .LBB43_22
.LBB43_19:                              ;   in Loop: Header=BB43_9 Depth=1
	s_wait_alu 0xfffe
	s_or_b32 exec_lo, exec_lo, s3
	s_and_saveexec_b32 s0, s1
	s_cbranch_execnz .LBB43_23
.LBB43_20:                              ;   in Loop: Header=BB43_9 Depth=1
	s_wait_alu 0xfffe
	s_or_b32 exec_lo, exec_lo, s0
	s_and_saveexec_b32 s0, s2
	s_cbranch_execz .LBB43_8
	s_branch .LBB43_24
.LBB43_21:                              ;   in Loop: Header=BB43_9 Depth=1
	s_delay_alu instid0(VALU_DEP_1) | instskip(SKIP_2) | instid1(VALU_DEP_1)
	v_mul_f64_e32 v[30:31], v[9:10], v[27:28]
	v_mul_f64_e32 v[32:33], v[11:12], v[27:28]
	v_lshlrev_b64_e32 v[17:18], 4, v[17:18]
	v_add_co_u32 v17, vcc_lo, s12, v17
	s_wait_alu 0xfffd
	s_delay_alu instid0(VALU_DEP_2)
	v_add_co_ci_u32_e64 v18, null, s13, v18, vcc_lo
	v_fma_f64 v[11:12], v[11:12], v[25:26], v[30:31]
	v_fma_f64 v[9:10], v[9:10], v[25:26], -v[32:33]
	global_store_b128 v[17:18], v[9:12], off
	s_wait_alu 0xfffe
	s_or_b32 exec_lo, exec_lo, s3
	s_and_saveexec_b32 s3, s0
	s_cbranch_execz .LBB43_19
.LBB43_22:                              ;   in Loop: Header=BB43_9 Depth=1
	s_delay_alu instid0(VALU_DEP_1) | instskip(SKIP_1) | instid1(VALU_DEP_2)
	v_mul_f64_e32 v[9:10], v[3:4], v[27:28]
	v_mul_f64_e32 v[11:12], v[1:2], v[27:28]
	v_fma_f64 v[1:2], v[1:2], v[25:26], -v[9:10]
	s_delay_alu instid0(VALU_DEP_2) | instskip(SKIP_1) | instid1(VALU_DEP_1)
	v_fma_f64 v[3:4], v[3:4], v[25:26], v[11:12]
	v_lshlrev_b64_e32 v[9:10], 4, v[19:20]
	v_add_co_u32 v9, vcc_lo, s12, v9
	s_wait_alu 0xfffd
	s_delay_alu instid0(VALU_DEP_2)
	v_add_co_ci_u32_e64 v10, null, s13, v10, vcc_lo
	global_store_b128 v[9:10], v[1:4], off
	s_wait_alu 0xfffe
	s_or_b32 exec_lo, exec_lo, s3
	s_and_saveexec_b32 s0, s1
	s_cbranch_execz .LBB43_20
.LBB43_23:                              ;   in Loop: Header=BB43_9 Depth=1
	s_delay_alu instid0(VALU_DEP_1) | instskip(SKIP_2) | instid1(VALU_DEP_1)
	v_mul_f64_e32 v[1:2], v[15:16], v[27:28]
	v_mul_f64_e32 v[3:4], v[13:14], v[27:28]
	v_lshlrev_b64_e32 v[9:10], 4, v[21:22]
	v_add_co_u32 v9, vcc_lo, s12, v9
	s_wait_alu 0xfffd
	s_delay_alu instid0(VALU_DEP_2)
	v_add_co_ci_u32_e64 v10, null, s13, v10, vcc_lo
	v_fma_f64 v[1:2], v[13:14], v[25:26], -v[1:2]
	v_fma_f64 v[3:4], v[15:16], v[25:26], v[3:4]
	global_store_b128 v[9:10], v[1:4], off
	s_wait_alu 0xfffe
	s_or_b32 exec_lo, exec_lo, s0
	s_and_saveexec_b32 s0, s2
	s_cbranch_execz .LBB43_8
.LBB43_24:                              ;   in Loop: Header=BB43_9 Depth=1
	s_delay_alu instid0(VALU_DEP_1) | instskip(SKIP_1) | instid1(VALU_DEP_2)
	v_mul_f64_e32 v[1:2], v[7:8], v[27:28]
	v_mul_f64_e32 v[3:4], v[5:6], v[27:28]
	v_fma_f64 v[1:2], v[5:6], v[25:26], -v[1:2]
	s_delay_alu instid0(VALU_DEP_2) | instskip(SKIP_1) | instid1(VALU_DEP_1)
	v_fma_f64 v[3:4], v[7:8], v[25:26], v[3:4]
	v_lshlrev_b64_e32 v[5:6], 4, v[23:24]
	v_add_co_u32 v5, vcc_lo, s12, v5
	s_wait_alu 0xfffd
	s_delay_alu instid0(VALU_DEP_2)
	v_add_co_ci_u32_e64 v6, null, s13, v6, vcc_lo
	global_store_b128 v[5:6], v[1:4], off
	s_branch .LBB43_8
.LBB43_25:
	s_endpgm
	.section	.rodata,"a",@progbits
	.p2align	6, 0x0
	.amdhsa_kernel _ZN2at6native12_GLOBAL__N_125multi_tensor_apply_kernelINS1_18TensorListMetadataILi2EEENS1_27BinaryOpScalarTensorFunctorIN3c107complexIdEELi2ELi1ELi1EEEJSt10multipliesIS8_EPS8_S8_EEEvT_T0_DpT1_
		.amdhsa_group_segment_fixed_size 0
		.amdhsa_private_segment_fixed_size 0
		.amdhsa_kernarg_size 3440
		.amdhsa_user_sgpr_count 2
		.amdhsa_user_sgpr_dispatch_ptr 0
		.amdhsa_user_sgpr_queue_ptr 0
		.amdhsa_user_sgpr_kernarg_segment_ptr 1
		.amdhsa_user_sgpr_dispatch_id 0
		.amdhsa_user_sgpr_private_segment_size 0
		.amdhsa_wavefront_size32 1
		.amdhsa_uses_dynamic_stack 0
		.amdhsa_enable_private_segment 0
		.amdhsa_system_sgpr_workgroup_id_x 1
		.amdhsa_system_sgpr_workgroup_id_y 0
		.amdhsa_system_sgpr_workgroup_id_z 0
		.amdhsa_system_sgpr_workgroup_info 0
		.amdhsa_system_vgpr_workitem_id 0
		.amdhsa_next_free_vgpr 40
		.amdhsa_next_free_sgpr 26
		.amdhsa_reserve_vcc 1
		.amdhsa_float_round_mode_32 0
		.amdhsa_float_round_mode_16_64 0
		.amdhsa_float_denorm_mode_32 3
		.amdhsa_float_denorm_mode_16_64 3
		.amdhsa_fp16_overflow 0
		.amdhsa_workgroup_processor_mode 1
		.amdhsa_memory_ordered 1
		.amdhsa_forward_progress 1
		.amdhsa_inst_pref_size 14
		.amdhsa_round_robin_scheduling 0
		.amdhsa_exception_fp_ieee_invalid_op 0
		.amdhsa_exception_fp_denorm_src 0
		.amdhsa_exception_fp_ieee_div_zero 0
		.amdhsa_exception_fp_ieee_overflow 0
		.amdhsa_exception_fp_ieee_underflow 0
		.amdhsa_exception_fp_ieee_inexact 0
		.amdhsa_exception_int_div_zero 0
	.end_amdhsa_kernel
	.section	.text._ZN2at6native12_GLOBAL__N_125multi_tensor_apply_kernelINS1_18TensorListMetadataILi2EEENS1_27BinaryOpScalarTensorFunctorIN3c107complexIdEELi2ELi1ELi1EEEJSt10multipliesIS8_EPS8_S8_EEEvT_T0_DpT1_,"axG",@progbits,_ZN2at6native12_GLOBAL__N_125multi_tensor_apply_kernelINS1_18TensorListMetadataILi2EEENS1_27BinaryOpScalarTensorFunctorIN3c107complexIdEELi2ELi1ELi1EEEJSt10multipliesIS8_EPS8_S8_EEEvT_T0_DpT1_,comdat
.Lfunc_end43:
	.size	_ZN2at6native12_GLOBAL__N_125multi_tensor_apply_kernelINS1_18TensorListMetadataILi2EEENS1_27BinaryOpScalarTensorFunctorIN3c107complexIdEELi2ELi1ELi1EEEJSt10multipliesIS8_EPS8_S8_EEEvT_T0_DpT1_, .Lfunc_end43-_ZN2at6native12_GLOBAL__N_125multi_tensor_apply_kernelINS1_18TensorListMetadataILi2EEENS1_27BinaryOpScalarTensorFunctorIN3c107complexIdEELi2ELi1ELi1EEEJSt10multipliesIS8_EPS8_S8_EEEvT_T0_DpT1_
                                        ; -- End function
	.set _ZN2at6native12_GLOBAL__N_125multi_tensor_apply_kernelINS1_18TensorListMetadataILi2EEENS1_27BinaryOpScalarTensorFunctorIN3c107complexIdEELi2ELi1ELi1EEEJSt10multipliesIS8_EPS8_S8_EEEvT_T0_DpT1_.num_vgpr, 40
	.set _ZN2at6native12_GLOBAL__N_125multi_tensor_apply_kernelINS1_18TensorListMetadataILi2EEENS1_27BinaryOpScalarTensorFunctorIN3c107complexIdEELi2ELi1ELi1EEEJSt10multipliesIS8_EPS8_S8_EEEvT_T0_DpT1_.num_agpr, 0
	.set _ZN2at6native12_GLOBAL__N_125multi_tensor_apply_kernelINS1_18TensorListMetadataILi2EEENS1_27BinaryOpScalarTensorFunctorIN3c107complexIdEELi2ELi1ELi1EEEJSt10multipliesIS8_EPS8_S8_EEEvT_T0_DpT1_.numbered_sgpr, 26
	.set _ZN2at6native12_GLOBAL__N_125multi_tensor_apply_kernelINS1_18TensorListMetadataILi2EEENS1_27BinaryOpScalarTensorFunctorIN3c107complexIdEELi2ELi1ELi1EEEJSt10multipliesIS8_EPS8_S8_EEEvT_T0_DpT1_.num_named_barrier, 0
	.set _ZN2at6native12_GLOBAL__N_125multi_tensor_apply_kernelINS1_18TensorListMetadataILi2EEENS1_27BinaryOpScalarTensorFunctorIN3c107complexIdEELi2ELi1ELi1EEEJSt10multipliesIS8_EPS8_S8_EEEvT_T0_DpT1_.private_seg_size, 0
	.set _ZN2at6native12_GLOBAL__N_125multi_tensor_apply_kernelINS1_18TensorListMetadataILi2EEENS1_27BinaryOpScalarTensorFunctorIN3c107complexIdEELi2ELi1ELi1EEEJSt10multipliesIS8_EPS8_S8_EEEvT_T0_DpT1_.uses_vcc, 1
	.set _ZN2at6native12_GLOBAL__N_125multi_tensor_apply_kernelINS1_18TensorListMetadataILi2EEENS1_27BinaryOpScalarTensorFunctorIN3c107complexIdEELi2ELi1ELi1EEEJSt10multipliesIS8_EPS8_S8_EEEvT_T0_DpT1_.uses_flat_scratch, 0
	.set _ZN2at6native12_GLOBAL__N_125multi_tensor_apply_kernelINS1_18TensorListMetadataILi2EEENS1_27BinaryOpScalarTensorFunctorIN3c107complexIdEELi2ELi1ELi1EEEJSt10multipliesIS8_EPS8_S8_EEEvT_T0_DpT1_.has_dyn_sized_stack, 0
	.set _ZN2at6native12_GLOBAL__N_125multi_tensor_apply_kernelINS1_18TensorListMetadataILi2EEENS1_27BinaryOpScalarTensorFunctorIN3c107complexIdEELi2ELi1ELi1EEEJSt10multipliesIS8_EPS8_S8_EEEvT_T0_DpT1_.has_recursion, 0
	.set _ZN2at6native12_GLOBAL__N_125multi_tensor_apply_kernelINS1_18TensorListMetadataILi2EEENS1_27BinaryOpScalarTensorFunctorIN3c107complexIdEELi2ELi1ELi1EEEJSt10multipliesIS8_EPS8_S8_EEEvT_T0_DpT1_.has_indirect_call, 0
	.section	.AMDGPU.csdata,"",@progbits
; Kernel info:
; codeLenInByte = 1680
; TotalNumSgprs: 28
; NumVgprs: 40
; ScratchSize: 0
; MemoryBound: 1
; FloatMode: 240
; IeeeMode: 1
; LDSByteSize: 0 bytes/workgroup (compile time only)
; SGPRBlocks: 0
; VGPRBlocks: 4
; NumSGPRsForWavesPerEU: 28
; NumVGPRsForWavesPerEU: 40
; Occupancy: 16
; WaveLimiterHint : 0
; COMPUTE_PGM_RSRC2:SCRATCH_EN: 0
; COMPUTE_PGM_RSRC2:USER_SGPR: 2
; COMPUTE_PGM_RSRC2:TRAP_HANDLER: 0
; COMPUTE_PGM_RSRC2:TGID_X_EN: 1
; COMPUTE_PGM_RSRC2:TGID_Y_EN: 0
; COMPUTE_PGM_RSRC2:TGID_Z_EN: 0
; COMPUTE_PGM_RSRC2:TIDIG_COMP_CNT: 0
	.section	.text._ZN2at6native12_GLOBAL__N_125multi_tensor_apply_kernelINS1_18TensorListMetadataILi2EEENS1_27BinaryOpScalarTensorFunctorIN3c107complexIfEELi2ELi1ELi1EEEJSt10multipliesIS8_EPS8_S8_EEEvT_T0_DpT1_,"axG",@progbits,_ZN2at6native12_GLOBAL__N_125multi_tensor_apply_kernelINS1_18TensorListMetadataILi2EEENS1_27BinaryOpScalarTensorFunctorIN3c107complexIfEELi2ELi1ELi1EEEJSt10multipliesIS8_EPS8_S8_EEEvT_T0_DpT1_,comdat
	.globl	_ZN2at6native12_GLOBAL__N_125multi_tensor_apply_kernelINS1_18TensorListMetadataILi2EEENS1_27BinaryOpScalarTensorFunctorIN3c107complexIfEELi2ELi1ELi1EEEJSt10multipliesIS8_EPS8_S8_EEEvT_T0_DpT1_ ; -- Begin function _ZN2at6native12_GLOBAL__N_125multi_tensor_apply_kernelINS1_18TensorListMetadataILi2EEENS1_27BinaryOpScalarTensorFunctorIN3c107complexIfEELi2ELi1ELi1EEEJSt10multipliesIS8_EPS8_S8_EEEvT_T0_DpT1_
	.p2align	8
	.type	_ZN2at6native12_GLOBAL__N_125multi_tensor_apply_kernelINS1_18TensorListMetadataILi2EEENS1_27BinaryOpScalarTensorFunctorIN3c107complexIfEELi2ELi1ELi1EEEJSt10multipliesIS8_EPS8_S8_EEEvT_T0_DpT1_,@function
_ZN2at6native12_GLOBAL__N_125multi_tensor_apply_kernelINS1_18TensorListMetadataILi2EEENS1_27BinaryOpScalarTensorFunctorIN3c107complexIfEELi2ELi1ELi1EEEJSt10multipliesIS8_EPS8_S8_EEEvT_T0_DpT1_: ; @_ZN2at6native12_GLOBAL__N_125multi_tensor_apply_kernelINS1_18TensorListMetadataILi2EEENS1_27BinaryOpScalarTensorFunctorIN3c107complexIfEELi2ELi1ELi1EEEJSt10multipliesIS8_EPS8_S8_EEEvT_T0_DpT1_
; %bb.0:
	s_mov_b32 s2, ttmp9
	s_mov_b32 s3, 0
	s_delay_alu instid0(SALU_CYCLE_1)
	s_mul_u64 s[4:5], s[2:3], 3
	s_add_nc_u64 s[6:7], s[0:1], s[2:3]
	s_mov_b32 s19, s3
	s_add_nc_u64 s[4:5], s[6:7], s[4:5]
	s_clause 0x1
	s_load_b32 s12, s[4:5], 0x740
	s_load_u8 s2, s[0:1], ttmp9 offset:0x600
	s_wait_kmcnt 0x0
	s_ashr_i32 s13, s12, 31
	s_lshl_b32 s2, s2, 3
	s_clause 0x3
	s_load_b64 s[8:9], s[0:1], s2 offset:0x0
	s_load_b64 s[10:11], s[0:1], s2 offset:0x200
	s_load_b64 s[14:15], s[0:1], s2 offset:0x400
	s_load_b128 s[4:7], s[0:1], 0xc50
	s_lshl_b64 s[16:17], s[12:13], 19
	s_lshl_b64 s[12:13], s[12:13], 16
	s_wait_kmcnt 0x0
	s_add_nc_u64 s[8:9], s[8:9], s[16:17]
	s_add_nc_u64 s[10:11], s[10:11], s[16:17]
	s_and_b32 s16, s14, 3
	s_and_b32 s18, s10, 31
	s_mov_b32 s17, s3
	s_and_b32 s2, s8, 31
	s_or_b64 s[16:17], s[18:19], s[16:17]
	s_delay_alu instid0(SALU_CYCLE_1)
	s_or_b64 s[16:17], s[16:17], s[2:3]
	s_sub_nc_u64 s[2:3], s[14:15], s[12:13]
	s_cmp_eq_u64 s[16:17], 0
	s_mov_b32 s12, -1
	s_cbranch_scc0 .LBB44_5
; %bb.1:
	v_cmp_gt_i64_e64 s12, 0x10000, s[2:3]
	v_dual_mov_b32 v2, 0 :: v_dual_lshlrev_b32 v1, 2, v0
	s_mov_b32 s20, exec_lo
	s_and_b32 s12, s12, exec_lo
	s_cselect_b32 s13, s3, 0
	s_cselect_b32 s12, s2, 0x10000
	s_delay_alu instid0(SALU_CYCLE_1)
	v_cmpx_gt_i64_e64 s[12:13], v[1:2]
	s_cbranch_execz .LBB44_4
; %bb.2:
	s_load_b32 s14, s[0:1], 0xc6c
	v_mov_b32_e32 v1, v2
	v_lshlrev_b32_e32 v5, 5, v0
	s_mov_b32 s15, 0
	s_mov_b64 s[16:17], s[8:9]
	s_mov_b32 s22, s15
	v_dual_mov_b32 v4, v1 :: v_dual_mov_b32 v3, v0
	s_mov_b64 s[18:19], s[10:11]
	s_wait_kmcnt 0x0
	s_and_b32 s21, s14, 0xffff
	s_delay_alu instid0(SALU_CYCLE_1)
	s_lshl_b32 s14, s21, 5
.LBB44_3:                               ; =>This Inner Loop Header: Depth=1
	global_load_b64 v[14:15], v2, s[4:5]
	v_add_co_u32 v10, s23, s16, v5
	s_wait_alu 0xf1ff
	v_add_co_ci_u32_e64 v11, null, s17, 0, s23
	v_add_co_u32 v3, vcc_lo, v3, s21
	s_clause 0x1
	global_load_b128 v[6:9], v[10:11], off
	global_load_b128 v[10:13], v[10:11], off offset:16
	s_wait_alu 0xfffd
	v_add_co_ci_u32_e64 v4, null, 0, v4, vcc_lo
	v_add_co_u32 v22, s23, s18, v5
	s_wait_alu 0xf1ff
	v_add_co_ci_u32_e64 v23, null, s19, 0, s23
	s_delay_alu instid0(VALU_DEP_3) | instskip(SKIP_2) | instid1(VALU_DEP_1)
	v_lshlrev_b64_e32 v[16:17], 2, v[3:4]
	s_add_nc_u64 s[18:19], s[18:19], s[14:15]
	s_add_nc_u64 s[16:17], s[16:17], s[14:15]
	v_cmp_le_i64_e32 vcc_lo, s[12:13], v[16:17]
	s_or_b32 s22, vcc_lo, s22
	s_wait_loadcnt 0x2
	v_mul_f32_e32 v24, s6, v15
	s_delay_alu instid0(VALU_DEP_1) | instskip(NEXT) | instid1(VALU_DEP_1)
	v_dual_mul_f32 v1, s7, v15 :: v_dual_fmac_f32 v24, s7, v14
	v_xor_b32_e32 v1, 0x80000000, v1
	s_wait_loadcnt 0x1
	s_delay_alu instid0(VALU_DEP_1) | instskip(SKIP_3) | instid1(VALU_DEP_3)
	v_dual_fmac_f32 v1, s6, v14 :: v_dual_mul_f32 v14, v7, v24
	v_mul_f32_e32 v16, v9, v24
	s_wait_loadcnt 0x0
	v_mul_f32_e32 v18, v11, v24
	v_dual_mul_f32 v20, v13, v24 :: v_dual_mul_f32 v19, v11, v1
	v_mul_f32_e32 v15, v7, v1
	v_mul_f32_e32 v17, v9, v1
	v_mul_f32_e32 v21, v13, v1
	v_fma_f32 v14, v6, v1, -v14
	v_fma_f32 v16, v8, v1, -v16
	v_fmac_f32_e32 v15, v6, v24
	v_fmac_f32_e32 v17, v8, v24
	v_fma_f32 v18, v10, v1, -v18
	v_fma_f32 v20, v12, v1, -v20
	v_fmac_f32_e32 v19, v10, v24
	v_fmac_f32_e32 v21, v12, v24
	s_clause 0x1
	global_store_b128 v[22:23], v[14:17], off
	global_store_b128 v[22:23], v[18:21], off offset:16
	s_wait_alu 0xfffe
	s_and_not1_b32 exec_lo, exec_lo, s22
	s_cbranch_execnz .LBB44_3
.LBB44_4:
	s_or_b32 exec_lo, exec_lo, s20
	s_mov_b32 s12, 0
.LBB44_5:
	s_wait_alu 0xfffe
	s_and_not1_b32 vcc_lo, exec_lo, s12
	s_wait_alu 0xfffe
	s_cbranch_vccnz .LBB44_25
; %bb.6:
	v_cmp_lt_i64_e64 s12, s[2:3], 1
	s_and_b32 vcc_lo, exec_lo, s12
	s_wait_alu 0xfffe
	s_cbranch_vccnz .LBB44_25
; %bb.7:
	s_load_b32 s0, s[0:1], 0xc6c
	v_cmp_gt_i64_e64 s1, 0x10000, s[2:3]
	v_cmp_gt_u64_e64 s12, 0x10000, s[2:3]
	v_mov_b32_e32 v17, 0
	s_mov_b32 s13, 0
	s_mov_b64 s[18:19], 0
	s_and_b32 s1, s1, exec_lo
	s_cselect_b32 s15, s3, 0
	s_cselect_b32 s14, s2, 0x10000
	s_wait_kmcnt 0x0
	s_and_b32 s20, s0, 0xffff
	s_and_b32 s0, s12, exec_lo
	s_cselect_b32 s17, s3, 0
	s_cselect_b32 s16, s2, 0x10000
	s_wait_alu 0xfffe
	s_lshl_b32 s21, s20, 1
	s_mul_i32 s22, s20, 3
	s_lshl_b32 s12, s20, 2
	s_branch .LBB44_9
.LBB44_8:                               ;   in Loop: Header=BB44_9 Depth=1
	s_wait_alu 0xfffe
	s_or_b32 exec_lo, exec_lo, s0
	s_add_nc_u64 s[18:19], s[18:19], s[12:13]
	s_wait_alu 0xfffe
	v_cmp_ge_i64_e64 s0, s[18:19], s[14:15]
	s_and_b32 vcc_lo, exec_lo, s0
	s_wait_alu 0xfffe
	s_cbranch_vccnz .LBB44_25
.LBB44_9:                               ; =>This Inner Loop Header: Depth=1
	v_add_co_u32 v7, s0, s18, v0
	s_wait_alu 0xf1ff
	v_add_co_ci_u32_e64 v8, null, s19, 0, s0
	v_dual_mov_b32 v6, 0 :: v_dual_mov_b32 v5, 0
	s_delay_alu instid0(VALU_DEP_2)
	v_cmp_gt_u64_e32 vcc_lo, s[16:17], v[7:8]
	s_and_saveexec_b32 s1, vcc_lo
	s_cbranch_execz .LBB44_11
; %bb.10:                               ;   in Loop: Header=BB44_9 Depth=1
	v_lshlrev_b64_e32 v[1:2], 3, v[7:8]
	s_delay_alu instid0(VALU_DEP_1) | instskip(SKIP_1) | instid1(VALU_DEP_2)
	v_add_co_u32 v1, s0, s8, v1
	s_wait_alu 0xf1ff
	v_add_co_ci_u32_e64 v2, null, s9, v2, s0
	global_load_b64 v[5:6], v[1:2], off
.LBB44_11:                              ;   in Loop: Header=BB44_9 Depth=1
	s_wait_alu 0xfffe
	s_or_b32 exec_lo, exec_lo, s1
	v_add_co_u32 v3, s0, v7, s20
	s_wait_alu 0xf1ff
	v_add_co_ci_u32_e64 v4, null, 0, v8, s0
	v_dual_mov_b32 v2, 0 :: v_dual_mov_b32 v13, 0
	v_mov_b32_e32 v14, 0
	s_delay_alu instid0(VALU_DEP_3)
	v_cmp_gt_u64_e64 s0, s[16:17], v[3:4]
	s_and_saveexec_b32 s2, s0
	s_cbranch_execz .LBB44_13
; %bb.12:                               ;   in Loop: Header=BB44_9 Depth=1
	v_lshlrev_b64_e32 v[9:10], 3, v[3:4]
	s_delay_alu instid0(VALU_DEP_1) | instskip(SKIP_1) | instid1(VALU_DEP_2)
	v_add_co_u32 v9, s1, s8, v9
	s_wait_alu 0xf1ff
	v_add_co_ci_u32_e64 v10, null, s9, v10, s1
	global_load_b64 v[13:14], v[9:10], off
.LBB44_13:                              ;   in Loop: Header=BB44_9 Depth=1
	s_wait_alu 0xfffe
	s_or_b32 exec_lo, exec_lo, s2
	v_add_co_u32 v9, s1, v7, s21
	s_wait_alu 0xf1ff
	v_add_co_ci_u32_e64 v10, null, 0, v8, s1
	v_mov_b32_e32 v1, 0
	s_delay_alu instid0(VALU_DEP_2)
	v_cmp_gt_u64_e64 s1, s[16:17], v[9:10]
	s_and_saveexec_b32 s3, s1
	s_cbranch_execz .LBB44_15
; %bb.14:                               ;   in Loop: Header=BB44_9 Depth=1
	v_lshlrev_b64_e32 v[1:2], 3, v[9:10]
	s_delay_alu instid0(VALU_DEP_1) | instskip(SKIP_1) | instid1(VALU_DEP_2)
	v_add_co_u32 v1, s2, s8, v1
	s_wait_alu 0xf1ff
	v_add_co_ci_u32_e64 v2, null, s9, v2, s2
	global_load_b64 v[1:2], v[1:2], off
.LBB44_15:                              ;   in Loop: Header=BB44_9 Depth=1
	s_wait_alu 0xfffe
	s_or_b32 exec_lo, exec_lo, s3
	v_add_co_u32 v11, s2, v7, s22
	s_wait_alu 0xf1ff
	v_add_co_ci_u32_e64 v12, null, 0, v8, s2
	v_mov_b32_e32 v15, 0
	v_mov_b32_e32 v16, 0
	s_delay_alu instid0(VALU_DEP_3)
	v_cmp_gt_u64_e64 s2, s[16:17], v[11:12]
	s_and_saveexec_b32 s23, s2
	s_cbranch_execz .LBB44_17
; %bb.16:                               ;   in Loop: Header=BB44_9 Depth=1
	v_lshlrev_b64_e32 v[15:16], 3, v[11:12]
	s_delay_alu instid0(VALU_DEP_1) | instskip(SKIP_1) | instid1(VALU_DEP_2)
	v_add_co_u32 v15, s3, s8, v15
	s_wait_alu 0xf1ff
	v_add_co_ci_u32_e64 v16, null, s9, v16, s3
	global_load_b64 v[15:16], v[15:16], off
.LBB44_17:                              ;   in Loop: Header=BB44_9 Depth=1
	s_wait_alu 0xfffe
	s_or_b32 exec_lo, exec_lo, s23
	global_load_b64 v[20:21], v17, s[4:5]
	s_wait_loadcnt 0x0
	v_mul_f32_e32 v19, s6, v21
	s_delay_alu instid0(VALU_DEP_1) | instskip(NEXT) | instid1(VALU_DEP_1)
	v_dual_mul_f32 v18, s7, v21 :: v_dual_fmac_f32 v19, s7, v20
	v_xor_b32_e32 v18, 0x80000000, v18
	s_delay_alu instid0(VALU_DEP_1)
	v_fmac_f32_e32 v18, s6, v20
	s_and_saveexec_b32 s3, vcc_lo
	s_cbranch_execnz .LBB44_21
; %bb.18:                               ;   in Loop: Header=BB44_9 Depth=1
	s_wait_alu 0xfffe
	s_or_b32 exec_lo, exec_lo, s3
	s_and_saveexec_b32 s3, s0
	s_cbranch_execnz .LBB44_22
.LBB44_19:                              ;   in Loop: Header=BB44_9 Depth=1
	s_wait_alu 0xfffe
	s_or_b32 exec_lo, exec_lo, s3
	s_and_saveexec_b32 s0, s1
	s_cbranch_execnz .LBB44_23
.LBB44_20:                              ;   in Loop: Header=BB44_9 Depth=1
	s_wait_alu 0xfffe
	s_or_b32 exec_lo, exec_lo, s0
	s_and_saveexec_b32 s0, s2
	s_cbranch_execz .LBB44_8
	s_branch .LBB44_24
.LBB44_21:                              ;   in Loop: Header=BB44_9 Depth=1
	v_lshlrev_b64_e32 v[7:8], 3, v[7:8]
	v_mul_f32_e32 v20, v6, v19
	v_mul_f32_e32 v21, v6, v18
	s_delay_alu instid0(VALU_DEP_2) | instskip(NEXT) | instid1(VALU_DEP_4)
	v_fma_f32 v20, v5, v18, -v20
	v_add_co_u32 v6, vcc_lo, s10, v7
	s_wait_alu 0xfffd
	v_add_co_ci_u32_e64 v7, null, s11, v8, vcc_lo
	v_fmac_f32_e32 v21, v5, v19
	global_store_b64 v[6:7], v[20:21], off
	s_wait_alu 0xfffe
	s_or_b32 exec_lo, exec_lo, s3
	s_and_saveexec_b32 s3, s0
	s_cbranch_execz .LBB44_19
.LBB44_22:                              ;   in Loop: Header=BB44_9 Depth=1
	v_lshlrev_b64_e32 v[6:7], 3, v[3:4]
	v_mul_f32_e32 v8, v14, v19
	v_mul_f32_e32 v5, v14, v18
	s_delay_alu instid0(VALU_DEP_2) | instskip(NEXT) | instid1(VALU_DEP_4)
	v_fma_f32 v4, v13, v18, -v8
	v_add_co_u32 v6, vcc_lo, s10, v6
	s_delay_alu instid0(VALU_DEP_3)
	v_fmac_f32_e32 v5, v13, v19
	s_wait_alu 0xfffd
	v_add_co_ci_u32_e64 v7, null, s11, v7, vcc_lo
	global_store_b64 v[6:7], v[4:5], off
	s_wait_alu 0xfffe
	s_or_b32 exec_lo, exec_lo, s3
	s_and_saveexec_b32 s0, s1
	s_cbranch_execz .LBB44_20
.LBB44_23:                              ;   in Loop: Header=BB44_9 Depth=1
	v_lshlrev_b64_e32 v[4:5], 3, v[9:10]
	v_mul_f32_e32 v6, v2, v19
	v_mul_f32_e32 v3, v2, v18
	s_delay_alu instid0(VALU_DEP_2) | instskip(NEXT) | instid1(VALU_DEP_4)
	v_fma_f32 v2, v1, v18, -v6
	v_add_co_u32 v4, vcc_lo, s10, v4
	s_delay_alu instid0(VALU_DEP_3)
	v_fmac_f32_e32 v3, v1, v19
	s_wait_alu 0xfffd
	v_add_co_ci_u32_e64 v5, null, s11, v5, vcc_lo
	global_store_b64 v[4:5], v[2:3], off
	s_wait_alu 0xfffe
	s_or_b32 exec_lo, exec_lo, s0
	s_and_saveexec_b32 s0, s2
	s_cbranch_execz .LBB44_8
.LBB44_24:                              ;   in Loop: Header=BB44_9 Depth=1
	v_lshlrev_b64_e32 v[3:4], 3, v[11:12]
	v_mul_f32_e32 v1, v19, v16
	v_mul_f32_e32 v2, v18, v16
	s_delay_alu instid0(VALU_DEP_2) | instskip(NEXT) | instid1(VALU_DEP_4)
	v_fma_f32 v1, v18, v15, -v1
	v_add_co_u32 v3, vcc_lo, s10, v3
	s_delay_alu instid0(VALU_DEP_3)
	v_fmac_f32_e32 v2, v19, v15
	s_wait_alu 0xfffd
	v_add_co_ci_u32_e64 v4, null, s11, v4, vcc_lo
	global_store_b64 v[3:4], v[1:2], off
	s_branch .LBB44_8
.LBB44_25:
	s_endpgm
	.section	.rodata,"a",@progbits
	.p2align	6, 0x0
	.amdhsa_kernel _ZN2at6native12_GLOBAL__N_125multi_tensor_apply_kernelINS1_18TensorListMetadataILi2EEENS1_27BinaryOpScalarTensorFunctorIN3c107complexIfEELi2ELi1ELi1EEEJSt10multipliesIS8_EPS8_S8_EEEvT_T0_DpT1_
		.amdhsa_group_segment_fixed_size 0
		.amdhsa_private_segment_fixed_size 0
		.amdhsa_kernarg_size 3424
		.amdhsa_user_sgpr_count 2
		.amdhsa_user_sgpr_dispatch_ptr 0
		.amdhsa_user_sgpr_queue_ptr 0
		.amdhsa_user_sgpr_kernarg_segment_ptr 1
		.amdhsa_user_sgpr_dispatch_id 0
		.amdhsa_user_sgpr_private_segment_size 0
		.amdhsa_wavefront_size32 1
		.amdhsa_uses_dynamic_stack 0
		.amdhsa_enable_private_segment 0
		.amdhsa_system_sgpr_workgroup_id_x 1
		.amdhsa_system_sgpr_workgroup_id_y 0
		.amdhsa_system_sgpr_workgroup_id_z 0
		.amdhsa_system_sgpr_workgroup_info 0
		.amdhsa_system_vgpr_workitem_id 0
		.amdhsa_next_free_vgpr 25
		.amdhsa_next_free_sgpr 24
		.amdhsa_reserve_vcc 1
		.amdhsa_float_round_mode_32 0
		.amdhsa_float_round_mode_16_64 0
		.amdhsa_float_denorm_mode_32 3
		.amdhsa_float_denorm_mode_16_64 3
		.amdhsa_fp16_overflow 0
		.amdhsa_workgroup_processor_mode 1
		.amdhsa_memory_ordered 1
		.amdhsa_forward_progress 1
		.amdhsa_inst_pref_size 13
		.amdhsa_round_robin_scheduling 0
		.amdhsa_exception_fp_ieee_invalid_op 0
		.amdhsa_exception_fp_denorm_src 0
		.amdhsa_exception_fp_ieee_div_zero 0
		.amdhsa_exception_fp_ieee_overflow 0
		.amdhsa_exception_fp_ieee_underflow 0
		.amdhsa_exception_fp_ieee_inexact 0
		.amdhsa_exception_int_div_zero 0
	.end_amdhsa_kernel
	.section	.text._ZN2at6native12_GLOBAL__N_125multi_tensor_apply_kernelINS1_18TensorListMetadataILi2EEENS1_27BinaryOpScalarTensorFunctorIN3c107complexIfEELi2ELi1ELi1EEEJSt10multipliesIS8_EPS8_S8_EEEvT_T0_DpT1_,"axG",@progbits,_ZN2at6native12_GLOBAL__N_125multi_tensor_apply_kernelINS1_18TensorListMetadataILi2EEENS1_27BinaryOpScalarTensorFunctorIN3c107complexIfEELi2ELi1ELi1EEEJSt10multipliesIS8_EPS8_S8_EEEvT_T0_DpT1_,comdat
.Lfunc_end44:
	.size	_ZN2at6native12_GLOBAL__N_125multi_tensor_apply_kernelINS1_18TensorListMetadataILi2EEENS1_27BinaryOpScalarTensorFunctorIN3c107complexIfEELi2ELi1ELi1EEEJSt10multipliesIS8_EPS8_S8_EEEvT_T0_DpT1_, .Lfunc_end44-_ZN2at6native12_GLOBAL__N_125multi_tensor_apply_kernelINS1_18TensorListMetadataILi2EEENS1_27BinaryOpScalarTensorFunctorIN3c107complexIfEELi2ELi1ELi1EEEJSt10multipliesIS8_EPS8_S8_EEEvT_T0_DpT1_
                                        ; -- End function
	.set _ZN2at6native12_GLOBAL__N_125multi_tensor_apply_kernelINS1_18TensorListMetadataILi2EEENS1_27BinaryOpScalarTensorFunctorIN3c107complexIfEELi2ELi1ELi1EEEJSt10multipliesIS8_EPS8_S8_EEEvT_T0_DpT1_.num_vgpr, 25
	.set _ZN2at6native12_GLOBAL__N_125multi_tensor_apply_kernelINS1_18TensorListMetadataILi2EEENS1_27BinaryOpScalarTensorFunctorIN3c107complexIfEELi2ELi1ELi1EEEJSt10multipliesIS8_EPS8_S8_EEEvT_T0_DpT1_.num_agpr, 0
	.set _ZN2at6native12_GLOBAL__N_125multi_tensor_apply_kernelINS1_18TensorListMetadataILi2EEENS1_27BinaryOpScalarTensorFunctorIN3c107complexIfEELi2ELi1ELi1EEEJSt10multipliesIS8_EPS8_S8_EEEvT_T0_DpT1_.numbered_sgpr, 24
	.set _ZN2at6native12_GLOBAL__N_125multi_tensor_apply_kernelINS1_18TensorListMetadataILi2EEENS1_27BinaryOpScalarTensorFunctorIN3c107complexIfEELi2ELi1ELi1EEEJSt10multipliesIS8_EPS8_S8_EEEvT_T0_DpT1_.num_named_barrier, 0
	.set _ZN2at6native12_GLOBAL__N_125multi_tensor_apply_kernelINS1_18TensorListMetadataILi2EEENS1_27BinaryOpScalarTensorFunctorIN3c107complexIfEELi2ELi1ELi1EEEJSt10multipliesIS8_EPS8_S8_EEEvT_T0_DpT1_.private_seg_size, 0
	.set _ZN2at6native12_GLOBAL__N_125multi_tensor_apply_kernelINS1_18TensorListMetadataILi2EEENS1_27BinaryOpScalarTensorFunctorIN3c107complexIfEELi2ELi1ELi1EEEJSt10multipliesIS8_EPS8_S8_EEEvT_T0_DpT1_.uses_vcc, 1
	.set _ZN2at6native12_GLOBAL__N_125multi_tensor_apply_kernelINS1_18TensorListMetadataILi2EEENS1_27BinaryOpScalarTensorFunctorIN3c107complexIfEELi2ELi1ELi1EEEJSt10multipliesIS8_EPS8_S8_EEEvT_T0_DpT1_.uses_flat_scratch, 0
	.set _ZN2at6native12_GLOBAL__N_125multi_tensor_apply_kernelINS1_18TensorListMetadataILi2EEENS1_27BinaryOpScalarTensorFunctorIN3c107complexIfEELi2ELi1ELi1EEEJSt10multipliesIS8_EPS8_S8_EEEvT_T0_DpT1_.has_dyn_sized_stack, 0
	.set _ZN2at6native12_GLOBAL__N_125multi_tensor_apply_kernelINS1_18TensorListMetadataILi2EEENS1_27BinaryOpScalarTensorFunctorIN3c107complexIfEELi2ELi1ELi1EEEJSt10multipliesIS8_EPS8_S8_EEEvT_T0_DpT1_.has_recursion, 0
	.set _ZN2at6native12_GLOBAL__N_125multi_tensor_apply_kernelINS1_18TensorListMetadataILi2EEENS1_27BinaryOpScalarTensorFunctorIN3c107complexIfEELi2ELi1ELi1EEEJSt10multipliesIS8_EPS8_S8_EEEvT_T0_DpT1_.has_indirect_call, 0
	.section	.AMDGPU.csdata,"",@progbits
; Kernel info:
; codeLenInByte = 1548
; TotalNumSgprs: 26
; NumVgprs: 25
; ScratchSize: 0
; MemoryBound: 0
; FloatMode: 240
; IeeeMode: 1
; LDSByteSize: 0 bytes/workgroup (compile time only)
; SGPRBlocks: 0
; VGPRBlocks: 3
; NumSGPRsForWavesPerEU: 26
; NumVGPRsForWavesPerEU: 25
; Occupancy: 16
; WaveLimiterHint : 0
; COMPUTE_PGM_RSRC2:SCRATCH_EN: 0
; COMPUTE_PGM_RSRC2:USER_SGPR: 2
; COMPUTE_PGM_RSRC2:TRAP_HANDLER: 0
; COMPUTE_PGM_RSRC2:TGID_X_EN: 1
; COMPUTE_PGM_RSRC2:TGID_Y_EN: 0
; COMPUTE_PGM_RSRC2:TGID_Z_EN: 0
; COMPUTE_PGM_RSRC2:TIDIG_COMP_CNT: 0
	.section	.text._ZN2at6native12_GLOBAL__N_125multi_tensor_apply_kernelINS1_18TensorListMetadataILi2EEENS1_27BinaryOpScalarTensorFunctorIbLi2ELi1ELi1EEEJSt10multipliesIbEPbbEEEvT_T0_DpT1_,"axG",@progbits,_ZN2at6native12_GLOBAL__N_125multi_tensor_apply_kernelINS1_18TensorListMetadataILi2EEENS1_27BinaryOpScalarTensorFunctorIbLi2ELi1ELi1EEEJSt10multipliesIbEPbbEEEvT_T0_DpT1_,comdat
	.globl	_ZN2at6native12_GLOBAL__N_125multi_tensor_apply_kernelINS1_18TensorListMetadataILi2EEENS1_27BinaryOpScalarTensorFunctorIbLi2ELi1ELi1EEEJSt10multipliesIbEPbbEEEvT_T0_DpT1_ ; -- Begin function _ZN2at6native12_GLOBAL__N_125multi_tensor_apply_kernelINS1_18TensorListMetadataILi2EEENS1_27BinaryOpScalarTensorFunctorIbLi2ELi1ELi1EEEJSt10multipliesIbEPbbEEEvT_T0_DpT1_
	.p2align	8
	.type	_ZN2at6native12_GLOBAL__N_125multi_tensor_apply_kernelINS1_18TensorListMetadataILi2EEENS1_27BinaryOpScalarTensorFunctorIbLi2ELi1ELi1EEEJSt10multipliesIbEPbbEEEvT_T0_DpT1_,@function
_ZN2at6native12_GLOBAL__N_125multi_tensor_apply_kernelINS1_18TensorListMetadataILi2EEENS1_27BinaryOpScalarTensorFunctorIbLi2ELi1ELi1EEEJSt10multipliesIbEPbbEEEvT_T0_DpT1_: ; @_ZN2at6native12_GLOBAL__N_125multi_tensor_apply_kernelINS1_18TensorListMetadataILi2EEENS1_27BinaryOpScalarTensorFunctorIbLi2ELi1ELi1EEEJSt10multipliesIbEPbbEEEvT_T0_DpT1_
; %bb.0:
	s_clause 0x1
	s_load_b96 s[4:6], s[0:1], 0xc50
	s_load_u8 s7, s[0:1], ttmp9 offset:0x600
	s_mov_b32 s2, ttmp9
	s_mov_b32 s3, 0
	s_delay_alu instid0(SALU_CYCLE_1) | instskip(SKIP_1) | instid1(SALU_CYCLE_1)
	s_mul_u64 s[8:9], s[2:3], 3
	s_add_nc_u64 s[2:3], s[0:1], s[2:3]
	s_add_nc_u64 s[2:3], s[2:3], s[8:9]
	s_load_b32 s2, s[2:3], 0x740
	s_wait_kmcnt 0x0
	s_bitcmp1_b32 s6, 0
	s_cselect_b32 s16, -1, 0
	s_lshl_b32 s3, s7, 3
	s_clause 0x2
	s_load_b64 s[10:11], s[0:1], s3 offset:0x400
	s_load_b64 s[6:7], s[0:1], s3 offset:0x0
	;; [unrolled: 1-line block ×3, first 2 shown]
	s_ashr_i32 s3, s2, 31
	s_delay_alu instid0(SALU_CYCLE_1) | instskip(SKIP_4) | instid1(SALU_CYCLE_1)
	s_lshl_b64 s[14:15], s[2:3], 16
	s_wait_kmcnt 0x0
	s_sub_nc_u64 s[12:13], s[10:11], s[14:15]
	s_add_nc_u64 s[2:3], s[6:7], s[14:15]
	s_or_b32 s3, s10, s8
	s_or_b32 s2, s3, s2
	s_delay_alu instid0(SALU_CYCLE_1) | instskip(NEXT) | instid1(SALU_CYCLE_1)
	s_and_b32 s2, s2, 3
	s_cmp_eq_u32 s2, 0
	s_mov_b32 s2, -1
	s_cbranch_scc0 .LBB45_5
; %bb.1:
	v_cmp_gt_i64_e64 s2, 0x10000, s[12:13]
	v_dual_mov_b32 v3, 0 :: v_dual_lshlrev_b32 v2, 2, v0
	s_mov_b32 s17, exec_lo
	s_and_b32 s2, s2, exec_lo
	s_cselect_b32 s11, s13, 0
	s_cselect_b32 s10, s12, 0x10000
	s_delay_alu instid0(SALU_CYCLE_1)
	v_cmpx_gt_i64_e64 s[10:11], v[2:3]
	s_cbranch_execz .LBB45_4
; %bb.2:
	s_load_b32 s2, s[0:1], 0xc6c
	v_mov_b32_e32 v1, v3
	v_add_co_u32 v4, s3, s14, v2
	s_delay_alu instid0(VALU_DEP_1) | instskip(NEXT) | instid1(VALU_DEP_3)
	v_add_co_ci_u32_e64 v5, null, s15, 0, s3
	v_mov_b32_e32 v2, v1
	v_mov_b32_e32 v1, v0
	s_mov_b32 s19, 0
	s_wait_kmcnt 0x0
	s_and_b32 s18, s2, 0xffff
	s_delay_alu instid0(SALU_CYCLE_1)
	s_lshl_b32 s20, s18, 2
.LBB45_3:                               ; =>This Inner Loop Header: Depth=1
	v_add_co_u32 v6, vcc_lo, s6, v4
	s_wait_alu 0xfffd
	v_add_co_ci_u32_e64 v7, null, s7, v5, vcc_lo
	v_add_co_u32 v1, vcc_lo, v1, s18
	s_wait_alu 0xfffd
	v_add_co_ci_u32_e64 v2, null, 0, v2, vcc_lo
	global_load_b32 v6, v[6:7], off
	global_load_u8 v7, v3, s[4:5]
	s_wait_loadcnt 0x1
	v_lshrrev_b32_e32 v9, 8, v6
	s_wait_loadcnt 0x0
	v_readfirstlane_b32 s2, v7
	v_lshrrev_b32_e32 v7, 16, v6
	v_and_b32_e32 v8, 0xff, v6
	v_lshrrev_b32_e32 v6, 24, v6
	v_and_b32_e32 v9, 0xff, v9
	s_cmp_lg_u32 s2, 0
	v_and_b32_e32 v7, 0xff, v7
	s_cselect_b32 s2, -1, 0
	v_cmp_ne_u16_e32 vcc_lo, 0, v8
	s_wait_alu 0xfffe
	s_and_b32 s21, s16, s2
	v_cmp_ne_u16_e64 s2, 0, v6
	v_cmp_ne_u16_e64 s3, 0, v9
	v_lshlrev_b64_e32 v[8:9], 2, v[1:2]
	s_wait_alu 0xfffe
	s_and_b32 s22, s21, vcc_lo
	v_cmp_ne_u16_e32 vcc_lo, 0, v7
	s_and_b32 s2, s21, s2
	s_wait_alu 0xfffe
	v_cndmask_b32_e64 v10, 0, 1, s22
	v_cndmask_b32_e64 v6, 0, 1, s2
	s_and_b32 s2, s21, s3
	s_wait_alu 0xfffe
	v_cndmask_b32_e64 v7, 0, 1, s2
	s_and_b32 s2, s21, vcc_lo
	v_lshlrev_b16 v12, 8, v6
	s_wait_alu 0xfffe
	v_cndmask_b32_e64 v11, 0, 1, s2
	v_add_co_u32 v6, vcc_lo, s8, v4
	v_lshlrev_b16 v7, 8, v7
	v_add_co_u32 v4, s2, v4, s20
	s_delay_alu instid0(VALU_DEP_4) | instskip(NEXT) | instid1(VALU_DEP_3)
	v_or_b32_e32 v11, v11, v12
	v_or_b32_e32 v10, v10, v7
	s_wait_alu 0xfffd
	v_add_co_ci_u32_e64 v7, null, s9, v5, vcc_lo
	s_delay_alu instid0(VALU_DEP_3) | instskip(SKIP_4) | instid1(VALU_DEP_2)
	v_lshlrev_b32_e32 v11, 16, v11
	v_cmp_le_i64_e32 vcc_lo, s[10:11], v[8:9]
	v_and_b32_e32 v10, 0xffff, v10
	s_wait_alu 0xf1ff
	v_add_co_ci_u32_e64 v5, null, 0, v5, s2
	v_or_b32_e32 v8, v10, v11
	s_or_b32 s19, vcc_lo, s19
	global_store_b32 v[6:7], v8, off
	s_wait_alu 0xfffe
	s_and_not1_b32 exec_lo, exec_lo, s19
	s_cbranch_execnz .LBB45_3
.LBB45_4:
	s_or_b32 exec_lo, exec_lo, s17
	s_mov_b32 s2, 0
.LBB45_5:
	s_wait_alu 0xfffe
	s_and_not1_b32 vcc_lo, exec_lo, s2
	s_wait_alu 0xfffe
	s_cbranch_vccnz .LBB45_25
; %bb.6:
	v_cmp_lt_i64_e64 s2, s[12:13], 1
	s_and_b32 vcc_lo, exec_lo, s2
	s_wait_alu 0xfffe
	s_cbranch_vccnz .LBB45_25
; %bb.7:
	s_load_b32 s0, s[0:1], 0xc6c
	v_cmp_gt_i64_e64 s2, 0x10000, s[12:13]
	v_cmp_gt_u64_e64 s17, 0x10000, s[12:13]
	s_mov_b32 s1, 0
	v_add_co_u32 v16, s3, s14, v0
	s_wait_alu 0xf1ff
	v_add_co_ci_u32_e64 v17, null, s15, 0, s3
	s_and_b32 s2, s2, exec_lo
	s_cselect_b32 s11, s13, 0
	s_cselect_b32 s10, s12, 0x10000
	s_mov_b32 s3, s1
	v_add_co_u32 v2, vcc_lo, s6, v16
	s_wait_alu 0xfffd
	v_add_co_ci_u32_e64 v3, null, s7, v17, vcc_lo
	v_add_co_u32 v4, vcc_lo, s8, v16
	s_wait_alu 0xfffd
	v_add_co_ci_u32_e64 v5, null, s9, v17, vcc_lo
	s_wait_kmcnt 0x0
	s_and_b32 s20, s0, 0xffff
	s_and_b32 s0, s17, exec_lo
	s_wait_alu 0xfffe
	s_mul_i32 s2, s20, 3
	s_cselect_b32 s13, s13, 0
	s_wait_alu 0xfffe
	s_add_nc_u64 s[18:19], s[14:15], s[2:3]
	s_cselect_b32 s12, s12, 0x10000
	s_lshl_b32 s0, s20, 1
	s_wait_alu 0xfffe
	v_add_co_u32 v8, s3, s18, v0
	s_wait_alu 0xf1ff
	v_add_co_ci_u32_e64 v9, null, s19, 0, s3
	s_add_nc_u64 s[14:15], s[14:15], s[0:1]
	v_add_co_u32 v6, vcc_lo, s6, v8
	s_wait_alu 0xfffe
	v_add_co_u32 v14, s3, s14, v0
	s_wait_alu 0xf1ff
	v_add_co_ci_u32_e64 v15, null, s15, 0, s3
	s_wait_alu 0xfffd
	v_add_co_ci_u32_e64 v7, null, s7, v9, vcc_lo
	v_add_co_u32 v8, vcc_lo, s8, v8
	s_wait_alu 0xfffd
	v_add_co_ci_u32_e64 v9, null, s9, v9, vcc_lo
	v_add_co_u32 v12, vcc_lo, s6, v14
	;; [unrolled: 3-line block ×4, first 2 shown]
	s_wait_alu 0xfffd
	v_add_co_ci_u32_e64 v21, null, 0, v17, vcc_lo
	v_add_co_u32 v16, s0, s0, v0
	s_delay_alu instid0(VALU_DEP_3)
	v_add_co_u32 v18, vcc_lo, s6, v20
	v_add_co_u32 v10, s2, s2, v0
	s_wait_alu 0xf1ff
	v_add_co_ci_u32_e64 v17, null, 0, 0, s0
	s_wait_alu 0xfffd
	v_add_co_ci_u32_e64 v19, null, s7, v21, vcc_lo
	v_add_co_u32 v20, vcc_lo, s8, v20
	v_add_co_u32 v22, s0, v0, s20
	v_mov_b32_e32 v1, 0
	v_add_co_ci_u32_e64 v11, null, 0, 0, s2
	s_wait_alu 0xfffd
	v_add_co_ci_u32_e64 v21, null, s9, v21, vcc_lo
	s_wait_alu 0xf1ff
	v_add_co_ci_u32_e64 v23, null, 0, 0, s0
	s_lshl_b32 s6, s20, 2
	s_mov_b32 s7, s1
	s_mov_b64 s[8:9], 0
	s_branch .LBB45_9
.LBB45_8:                               ;   in Loop: Header=BB45_9 Depth=1
	s_wait_alu 0xfffe
	s_or_b32 exec_lo, exec_lo, s0
	s_add_nc_u64 s[8:9], s[8:9], s[6:7]
	s_wait_alu 0xfffe
	v_cmp_ge_i64_e64 s0, s[8:9], s[10:11]
	s_and_b32 vcc_lo, exec_lo, s0
	s_wait_alu 0xfffe
	s_cbranch_vccnz .LBB45_25
.LBB45_9:                               ; =>This Inner Loop Header: Depth=1
	s_wait_alu 0xfffe
	v_add_co_u32 v24, s0, v0, s8
	s_wait_alu 0xf1ff
	v_add_co_ci_u32_e64 v25, null, 0, s9, s0
	s_delay_alu instid0(VALU_DEP_1)
	v_cmp_gt_u64_e32 vcc_lo, s[12:13], v[24:25]
	v_mov_b32_e32 v25, 0
	s_and_saveexec_b32 s1, vcc_lo
	s_cbranch_execz .LBB45_11
; %bb.10:                               ;   in Loop: Header=BB45_9 Depth=1
	v_add_co_u32 v24, s0, v2, s8
	s_wait_alu 0xf1ff
	v_add_co_ci_u32_e64 v25, null, s9, v3, s0
	global_load_u8 v25, v[24:25], off
.LBB45_11:                              ;   in Loop: Header=BB45_9 Depth=1
	s_wait_alu 0xfffe
	s_or_b32 exec_lo, exec_lo, s1
	v_add_co_u32 v26, s0, v22, s8
	s_wait_alu 0xf1ff
	v_add_co_ci_u32_e64 v27, null, s9, v23, s0
	v_mov_b32_e32 v24, 0
	s_delay_alu instid0(VALU_DEP_2)
	v_cmp_gt_u64_e64 s0, s[12:13], v[26:27]
	v_mov_b32_e32 v26, 0
	s_and_saveexec_b32 s2, s0
	s_cbranch_execz .LBB45_13
; %bb.12:                               ;   in Loop: Header=BB45_9 Depth=1
	v_add_co_u32 v26, s1, v18, s8
	s_wait_alu 0xf1ff
	v_add_co_ci_u32_e64 v27, null, s9, v19, s1
	global_load_u8 v26, v[26:27], off
.LBB45_13:                              ;   in Loop: Header=BB45_9 Depth=1
	s_wait_alu 0xfffe
	s_or_b32 exec_lo, exec_lo, s2
	v_add_co_u32 v27, s1, v16, s8
	s_wait_alu 0xf1ff
	v_add_co_ci_u32_e64 v28, null, s9, v17, s1
	s_delay_alu instid0(VALU_DEP_1)
	v_cmp_gt_u64_e64 s1, s[12:13], v[27:28]
	s_and_saveexec_b32 s3, s1
	s_cbranch_execz .LBB45_15
; %bb.14:                               ;   in Loop: Header=BB45_9 Depth=1
	v_add_co_u32 v27, s2, v12, s8
	s_wait_alu 0xf1ff
	v_add_co_ci_u32_e64 v28, null, s9, v13, s2
	global_load_u8 v24, v[27:28], off
.LBB45_15:                              ;   in Loop: Header=BB45_9 Depth=1
	s_wait_alu 0xfffe
	s_or_b32 exec_lo, exec_lo, s3
	v_add_co_u32 v27, s2, v10, s8
	s_wait_alu 0xf1ff
	v_add_co_ci_u32_e64 v28, null, s9, v11, s2
	s_delay_alu instid0(VALU_DEP_1)
	v_cmp_gt_u64_e64 s2, s[12:13], v[27:28]
	v_mov_b32_e32 v27, 0
	s_and_saveexec_b32 s14, s2
	s_cbranch_execz .LBB45_17
; %bb.16:                               ;   in Loop: Header=BB45_9 Depth=1
	v_add_co_u32 v27, s3, v6, s8
	s_wait_alu 0xf1ff
	v_add_co_ci_u32_e64 v28, null, s9, v7, s3
	global_load_u8 v27, v[27:28], off
.LBB45_17:                              ;   in Loop: Header=BB45_9 Depth=1
	s_wait_alu 0xfffe
	s_or_b32 exec_lo, exec_lo, s14
	global_load_u8 v28, v1, s[4:5]
	s_wait_loadcnt 0x1
	v_and_b32_e32 v25, 0xff, v25
	s_wait_loadcnt 0x0
	v_readfirstlane_b32 s3, v28
	s_cmp_lg_u32 s3, 0
	v_cmp_ne_u16_e64 s3, 0, v25
	s_cselect_b32 s14, -1, 0
	s_wait_alu 0xfffe
	s_and_b32 s14, s16, s14
	s_and_saveexec_b32 s15, vcc_lo
	s_cbranch_execz .LBB45_19
; %bb.18:                               ;   in Loop: Header=BB45_9 Depth=1
	s_wait_alu 0xfffe
	s_and_b32 s3, s14, s3
	v_add_co_u32 v28, vcc_lo, v4, s8
	s_wait_alu 0xfffe
	v_cndmask_b32_e64 v25, 0, 1, s3
	s_wait_alu 0xfffd
	v_add_co_ci_u32_e64 v29, null, s9, v5, vcc_lo
	global_store_b8 v[28:29], v25, off
.LBB45_19:                              ;   in Loop: Header=BB45_9 Depth=1
	s_wait_alu 0xfffe
	s_or_b32 exec_lo, exec_lo, s15
	v_and_b32_e32 v25, 0xff, v26
	s_delay_alu instid0(VALU_DEP_1)
	v_cmp_ne_u16_e32 vcc_lo, 0, v25
	s_and_saveexec_b32 s3, s0
	s_cbranch_execz .LBB45_21
; %bb.20:                               ;   in Loop: Header=BB45_9 Depth=1
	s_and_b32 s0, s14, vcc_lo
	v_add_co_u32 v25, vcc_lo, v20, s8
	s_wait_alu 0xfffe
	v_cndmask_b32_e64 v28, 0, 1, s0
	s_wait_alu 0xfffd
	v_add_co_ci_u32_e64 v26, null, s9, v21, vcc_lo
	global_store_b8 v[25:26], v28, off
.LBB45_21:                              ;   in Loop: Header=BB45_9 Depth=1
	s_wait_alu 0xfffe
	s_or_b32 exec_lo, exec_lo, s3
	v_and_b32_e32 v24, 0xff, v24
	s_delay_alu instid0(VALU_DEP_1)
	v_cmp_ne_u16_e32 vcc_lo, 0, v24
	s_and_saveexec_b32 s0, s1
	s_cbranch_execz .LBB45_23
; %bb.22:                               ;   in Loop: Header=BB45_9 Depth=1
	s_and_b32 s1, s14, vcc_lo
	v_add_co_u32 v24, vcc_lo, v14, s8
	s_wait_alu 0xfffe
	v_cndmask_b32_e64 v26, 0, 1, s1
	s_wait_alu 0xfffd
	v_add_co_ci_u32_e64 v25, null, s9, v15, vcc_lo
	global_store_b8 v[24:25], v26, off
.LBB45_23:                              ;   in Loop: Header=BB45_9 Depth=1
	s_wait_alu 0xfffe
	s_or_b32 exec_lo, exec_lo, s0
	v_and_b32_e32 v24, 0xff, v27
	s_delay_alu instid0(VALU_DEP_1)
	v_cmp_ne_u16_e32 vcc_lo, 0, v24
	s_and_saveexec_b32 s0, s2
	s_cbranch_execz .LBB45_8
; %bb.24:                               ;   in Loop: Header=BB45_9 Depth=1
	s_and_b32 s1, s14, vcc_lo
	v_add_co_u32 v24, vcc_lo, v8, s8
	s_wait_alu 0xfffe
	v_cndmask_b32_e64 v26, 0, 1, s1
	s_wait_alu 0xfffd
	v_add_co_ci_u32_e64 v25, null, s9, v9, vcc_lo
	global_store_b8 v[24:25], v26, off
	s_branch .LBB45_8
.LBB45_25:
	s_endpgm
	.section	.rodata,"a",@progbits
	.p2align	6, 0x0
	.amdhsa_kernel _ZN2at6native12_GLOBAL__N_125multi_tensor_apply_kernelINS1_18TensorListMetadataILi2EEENS1_27BinaryOpScalarTensorFunctorIbLi2ELi1ELi1EEEJSt10multipliesIbEPbbEEEvT_T0_DpT1_
		.amdhsa_group_segment_fixed_size 0
		.amdhsa_private_segment_fixed_size 0
		.amdhsa_kernarg_size 3424
		.amdhsa_user_sgpr_count 2
		.amdhsa_user_sgpr_dispatch_ptr 0
		.amdhsa_user_sgpr_queue_ptr 0
		.amdhsa_user_sgpr_kernarg_segment_ptr 1
		.amdhsa_user_sgpr_dispatch_id 0
		.amdhsa_user_sgpr_private_segment_size 0
		.amdhsa_wavefront_size32 1
		.amdhsa_uses_dynamic_stack 0
		.amdhsa_enable_private_segment 0
		.amdhsa_system_sgpr_workgroup_id_x 1
		.amdhsa_system_sgpr_workgroup_id_y 0
		.amdhsa_system_sgpr_workgroup_id_z 0
		.amdhsa_system_sgpr_workgroup_info 0
		.amdhsa_system_vgpr_workitem_id 0
		.amdhsa_next_free_vgpr 30
		.amdhsa_next_free_sgpr 23
		.amdhsa_reserve_vcc 1
		.amdhsa_float_round_mode_32 0
		.amdhsa_float_round_mode_16_64 0
		.amdhsa_float_denorm_mode_32 3
		.amdhsa_float_denorm_mode_16_64 3
		.amdhsa_fp16_overflow 0
		.amdhsa_workgroup_processor_mode 1
		.amdhsa_memory_ordered 1
		.amdhsa_forward_progress 1
		.amdhsa_inst_pref_size 15
		.amdhsa_round_robin_scheduling 0
		.amdhsa_exception_fp_ieee_invalid_op 0
		.amdhsa_exception_fp_denorm_src 0
		.amdhsa_exception_fp_ieee_div_zero 0
		.amdhsa_exception_fp_ieee_overflow 0
		.amdhsa_exception_fp_ieee_underflow 0
		.amdhsa_exception_fp_ieee_inexact 0
		.amdhsa_exception_int_div_zero 0
	.end_amdhsa_kernel
	.section	.text._ZN2at6native12_GLOBAL__N_125multi_tensor_apply_kernelINS1_18TensorListMetadataILi2EEENS1_27BinaryOpScalarTensorFunctorIbLi2ELi1ELi1EEEJSt10multipliesIbEPbbEEEvT_T0_DpT1_,"axG",@progbits,_ZN2at6native12_GLOBAL__N_125multi_tensor_apply_kernelINS1_18TensorListMetadataILi2EEENS1_27BinaryOpScalarTensorFunctorIbLi2ELi1ELi1EEEJSt10multipliesIbEPbbEEEvT_T0_DpT1_,comdat
.Lfunc_end45:
	.size	_ZN2at6native12_GLOBAL__N_125multi_tensor_apply_kernelINS1_18TensorListMetadataILi2EEENS1_27BinaryOpScalarTensorFunctorIbLi2ELi1ELi1EEEJSt10multipliesIbEPbbEEEvT_T0_DpT1_, .Lfunc_end45-_ZN2at6native12_GLOBAL__N_125multi_tensor_apply_kernelINS1_18TensorListMetadataILi2EEENS1_27BinaryOpScalarTensorFunctorIbLi2ELi1ELi1EEEJSt10multipliesIbEPbbEEEvT_T0_DpT1_
                                        ; -- End function
	.set _ZN2at6native12_GLOBAL__N_125multi_tensor_apply_kernelINS1_18TensorListMetadataILi2EEENS1_27BinaryOpScalarTensorFunctorIbLi2ELi1ELi1EEEJSt10multipliesIbEPbbEEEvT_T0_DpT1_.num_vgpr, 30
	.set _ZN2at6native12_GLOBAL__N_125multi_tensor_apply_kernelINS1_18TensorListMetadataILi2EEENS1_27BinaryOpScalarTensorFunctorIbLi2ELi1ELi1EEEJSt10multipliesIbEPbbEEEvT_T0_DpT1_.num_agpr, 0
	.set _ZN2at6native12_GLOBAL__N_125multi_tensor_apply_kernelINS1_18TensorListMetadataILi2EEENS1_27BinaryOpScalarTensorFunctorIbLi2ELi1ELi1EEEJSt10multipliesIbEPbbEEEvT_T0_DpT1_.numbered_sgpr, 23
	.set _ZN2at6native12_GLOBAL__N_125multi_tensor_apply_kernelINS1_18TensorListMetadataILi2EEENS1_27BinaryOpScalarTensorFunctorIbLi2ELi1ELi1EEEJSt10multipliesIbEPbbEEEvT_T0_DpT1_.num_named_barrier, 0
	.set _ZN2at6native12_GLOBAL__N_125multi_tensor_apply_kernelINS1_18TensorListMetadataILi2EEENS1_27BinaryOpScalarTensorFunctorIbLi2ELi1ELi1EEEJSt10multipliesIbEPbbEEEvT_T0_DpT1_.private_seg_size, 0
	.set _ZN2at6native12_GLOBAL__N_125multi_tensor_apply_kernelINS1_18TensorListMetadataILi2EEENS1_27BinaryOpScalarTensorFunctorIbLi2ELi1ELi1EEEJSt10multipliesIbEPbbEEEvT_T0_DpT1_.uses_vcc, 1
	.set _ZN2at6native12_GLOBAL__N_125multi_tensor_apply_kernelINS1_18TensorListMetadataILi2EEENS1_27BinaryOpScalarTensorFunctorIbLi2ELi1ELi1EEEJSt10multipliesIbEPbbEEEvT_T0_DpT1_.uses_flat_scratch, 0
	.set _ZN2at6native12_GLOBAL__N_125multi_tensor_apply_kernelINS1_18TensorListMetadataILi2EEENS1_27BinaryOpScalarTensorFunctorIbLi2ELi1ELi1EEEJSt10multipliesIbEPbbEEEvT_T0_DpT1_.has_dyn_sized_stack, 0
	.set _ZN2at6native12_GLOBAL__N_125multi_tensor_apply_kernelINS1_18TensorListMetadataILi2EEENS1_27BinaryOpScalarTensorFunctorIbLi2ELi1ELi1EEEJSt10multipliesIbEPbbEEEvT_T0_DpT1_.has_recursion, 0
	.set _ZN2at6native12_GLOBAL__N_125multi_tensor_apply_kernelINS1_18TensorListMetadataILi2EEENS1_27BinaryOpScalarTensorFunctorIbLi2ELi1ELi1EEEJSt10multipliesIbEPbbEEEvT_T0_DpT1_.has_indirect_call, 0
	.section	.AMDGPU.csdata,"",@progbits
; Kernel info:
; codeLenInByte = 1824
; TotalNumSgprs: 25
; NumVgprs: 30
; ScratchSize: 0
; MemoryBound: 0
; FloatMode: 240
; IeeeMode: 1
; LDSByteSize: 0 bytes/workgroup (compile time only)
; SGPRBlocks: 0
; VGPRBlocks: 3
; NumSGPRsForWavesPerEU: 25
; NumVGPRsForWavesPerEU: 30
; Occupancy: 16
; WaveLimiterHint : 0
; COMPUTE_PGM_RSRC2:SCRATCH_EN: 0
; COMPUTE_PGM_RSRC2:USER_SGPR: 2
; COMPUTE_PGM_RSRC2:TRAP_HANDLER: 0
; COMPUTE_PGM_RSRC2:TGID_X_EN: 1
; COMPUTE_PGM_RSRC2:TGID_Y_EN: 0
; COMPUTE_PGM_RSRC2:TGID_Z_EN: 0
; COMPUTE_PGM_RSRC2:TIDIG_COMP_CNT: 0
	.section	.text._ZN2at6native12_GLOBAL__N_125multi_tensor_apply_kernelINS1_18TensorListMetadataILi2EEENS1_27BinaryOpScalarTensorFunctorIN3c104HalfELi2ELi1ELi1EEEJSt10multipliesIfEPS7_fEEEvT_T0_DpT1_,"axG",@progbits,_ZN2at6native12_GLOBAL__N_125multi_tensor_apply_kernelINS1_18TensorListMetadataILi2EEENS1_27BinaryOpScalarTensorFunctorIN3c104HalfELi2ELi1ELi1EEEJSt10multipliesIfEPS7_fEEEvT_T0_DpT1_,comdat
	.globl	_ZN2at6native12_GLOBAL__N_125multi_tensor_apply_kernelINS1_18TensorListMetadataILi2EEENS1_27BinaryOpScalarTensorFunctorIN3c104HalfELi2ELi1ELi1EEEJSt10multipliesIfEPS7_fEEEvT_T0_DpT1_ ; -- Begin function _ZN2at6native12_GLOBAL__N_125multi_tensor_apply_kernelINS1_18TensorListMetadataILi2EEENS1_27BinaryOpScalarTensorFunctorIN3c104HalfELi2ELi1ELi1EEEJSt10multipliesIfEPS7_fEEEvT_T0_DpT1_
	.p2align	8
	.type	_ZN2at6native12_GLOBAL__N_125multi_tensor_apply_kernelINS1_18TensorListMetadataILi2EEENS1_27BinaryOpScalarTensorFunctorIN3c104HalfELi2ELi1ELi1EEEJSt10multipliesIfEPS7_fEEEvT_T0_DpT1_,@function
_ZN2at6native12_GLOBAL__N_125multi_tensor_apply_kernelINS1_18TensorListMetadataILi2EEENS1_27BinaryOpScalarTensorFunctorIN3c104HalfELi2ELi1ELi1EEEJSt10multipliesIfEPS7_fEEEvT_T0_DpT1_: ; @_ZN2at6native12_GLOBAL__N_125multi_tensor_apply_kernelINS1_18TensorListMetadataILi2EEENS1_27BinaryOpScalarTensorFunctorIN3c104HalfELi2ELi1ELi1EEEJSt10multipliesIfEPS7_fEEEvT_T0_DpT1_
; %bb.0:
	s_mov_b32 s2, ttmp9
	s_mov_b32 s3, 0
	s_delay_alu instid0(SALU_CYCLE_1)
	s_mul_u64 s[4:5], s[2:3], 3
	s_add_nc_u64 s[6:7], s[0:1], s[2:3]
	s_mov_b32 s15, s3
	s_add_nc_u64 s[4:5], s[6:7], s[4:5]
	s_clause 0x1
	s_load_b32 s10, s[4:5], 0x740
	s_load_u8 s2, s[0:1], ttmp9 offset:0x600
	s_mov_b32 s21, s3
	s_wait_kmcnt 0x0
	s_ashr_i32 s11, s10, 31
	s_lshl_b32 s2, s2, 3
	s_clause 0x3
	s_load_b64 s[16:17], s[0:1], s2 offset:0x0
	s_load_b64 s[18:19], s[0:1], s2 offset:0x200
	;; [unrolled: 1-line block ×3, first 2 shown]
	s_load_b96 s[4:6], s[0:1], 0xc50
	s_lshl_b64 s[8:9], s[10:11], 17
	s_lshl_b64 s[10:11], s[10:11], 16
	s_wait_kmcnt 0x0
	s_add_nc_u64 s[22:23], s[16:17], s[8:9]
	s_and_b32 s14, s18, 7
	s_and_b32 s20, s12, 3
	;; [unrolled: 1-line block ×3, first 2 shown]
	s_or_b64 s[14:15], s[14:15], s[20:21]
	s_sub_nc_u64 s[12:13], s[12:13], s[10:11]
	s_or_b64 s[2:3], s[14:15], s[2:3]
	s_delay_alu instid0(SALU_CYCLE_1)
	s_cmp_eq_u64 s[2:3], 0
	s_mov_b32 s2, -1
	s_cbranch_scc0 .LBB46_5
; %bb.1:
	v_cmp_gt_i64_e64 s2, 0x10000, s[12:13]
	v_dual_mov_b32 v2, 0 :: v_dual_lshlrev_b32 v1, 2, v0
	s_mov_b32 s3, exec_lo
	s_and_b32 s2, s2, exec_lo
	s_cselect_b32 s11, s13, 0
	s_cselect_b32 s10, s12, 0x10000
	s_delay_alu instid0(SALU_CYCLE_1)
	v_cmpx_gt_i64_e64 s[10:11], v[1:2]
	s_cbranch_execz .LBB46_4
; %bb.2:
	s_load_b32 s2, s[0:1], 0xc6c
	v_lshlrev_b32_e32 v3, 3, v0
	v_mov_b32_e32 v1, v2
	s_mov_b32 s14, 0
	s_delay_alu instid0(VALU_DEP_2) | instskip(NEXT) | instid1(VALU_DEP_1)
	v_add_co_u32 v5, s7, s8, v3
	v_add_co_ci_u32_e64 v6, null, s9, 0, s7
	s_delay_alu instid0(VALU_DEP_3)
	v_dual_mov_b32 v4, v1 :: v_dual_mov_b32 v3, v0
	s_wait_kmcnt 0x0
	s_and_b32 s7, s2, 0xffff
	s_wait_alu 0xfffe
	s_lshl_b32 s15, s7, 3
.LBB46_3:                               ; =>This Inner Loop Header: Depth=1
	global_load_u16 v1, v2, s[4:5]
	v_add_co_u32 v7, vcc_lo, s16, v5
	s_wait_alu 0xfffd
	v_add_co_ci_u32_e64 v8, null, s17, v6, vcc_lo
	v_add_co_u32 v3, vcc_lo, v3, s7
	s_wait_alu 0xfffd
	v_add_co_ci_u32_e64 v4, null, 0, v4, vcc_lo
	global_load_b64 v[7:8], v[7:8], off
	v_add_co_u32 v9, vcc_lo, s18, v5
	v_lshlrev_b64_e32 v[11:12], 2, v[3:4]
	s_wait_alu 0xfffd
	v_add_co_ci_u32_e64 v10, null, s19, v6, vcc_lo
	v_add_co_u32 v5, vcc_lo, v5, s15
	s_wait_alu 0xfffd
	v_add_co_ci_u32_e64 v6, null, 0, v6, vcc_lo
	v_cmp_le_i64_e64 s2, s[10:11], v[11:12]
	s_or_b32 s14, s2, s14
	s_wait_loadcnt 0x1
	v_cvt_f32_f16_e32 v1, v1
	s_delay_alu instid0(VALU_DEP_1) | instskip(SKIP_1) | instid1(VALU_DEP_1)
	v_mul_f32_e32 v1, s6, v1
	s_wait_loadcnt 0x0
	v_fma_mixlo_f16 v14, v1, v8, 0 op_sel_hi:[0,1,0]
	v_fma_mixlo_f16 v13, v1, v7, 0 op_sel_hi:[0,1,0]
	s_delay_alu instid0(VALU_DEP_2) | instskip(NEXT) | instid1(VALU_DEP_2)
	v_fma_mixhi_f16 v14, v1, v8, 0 op_sel:[0,1,0] op_sel_hi:[0,1,0]
	v_fma_mixhi_f16 v13, v1, v7, 0 op_sel:[0,1,0] op_sel_hi:[0,1,0]
	global_store_b64 v[9:10], v[13:14], off
	s_wait_alu 0xfffe
	s_and_not1_b32 exec_lo, exec_lo, s14
	s_cbranch_execnz .LBB46_3
.LBB46_4:
	s_or_b32 exec_lo, exec_lo, s3
	s_mov_b32 s2, 0
.LBB46_5:
	s_delay_alu instid0(SALU_CYCLE_1)
	s_and_not1_b32 vcc_lo, exec_lo, s2
	s_wait_alu 0xfffe
	s_cbranch_vccnz .LBB46_25
; %bb.6:
	v_cmp_lt_i64_e64 s2, s[12:13], 1
	s_and_b32 vcc_lo, exec_lo, s2
	s_wait_alu 0xfffe
	s_cbranch_vccnz .LBB46_25
; %bb.7:
	s_load_b32 s0, s[0:1], 0xc6c
	v_cmp_gt_i64_e64 s1, 0x10000, s[12:13]
	v_dual_mov_b32 v2, 0 :: v_dual_lshlrev_b32 v1, 1, v0
	v_cmp_gt_u64_e64 s2, 0x10000, s[12:13]
	s_mov_b32 s15, 0
	s_and_b32 s1, s1, exec_lo
	v_add_co_u32 v3, s3, s16, v1
	s_cselect_b32 s11, s13, 0
	s_cselect_b32 s10, s12, 0x10000
	v_add_co_ci_u32_e64 v4, null, s17, 0, s3
	v_add_co_u32 v5, s3, s18, v1
	s_wait_alu 0xf1ff
	v_add_co_ci_u32_e64 v6, null, s19, 0, s3
	s_wait_kmcnt 0x0
	s_and_b32 s0, s0, 0xffff
	s_and_b32 s1, s2, exec_lo
	s_cselect_b32 s13, s13, 0
	s_cselect_b32 s12, s12, 0x10000
	s_mul_i32 s2, s0, 3
	s_lshl_b32 s14, s0, 2
	v_mad_co_u64_u32 v[9:10], null, s0, 6, v[1:2]
	s_wait_alu 0xfffe
	v_add_co_u32 v15, s3, s14, v1
	v_add_co_u32 v1, s2, s2, v0
	s_wait_alu 0xf1ff
	v_add_co_ci_u32_e64 v11, null, 0, 0, s2
	v_add_co_u32 v14, s2, v0, s0
	s_lshl_b32 s1, s0, 1
	v_add_co_u32 v7, vcc_lo, s16, v9
	v_lshlrev_b32_e32 v22, 1, v14
	v_add_co_ci_u32_e64 v16, null, 0, 0, s3
	s_wait_alu 0xfffd
	v_add_co_ci_u32_e64 v8, null, s17, v10, vcc_lo
	v_add_co_u32 v9, vcc_lo, s18, v9
	s_wait_alu 0xfffe
	v_add_co_u32 v18, s1, s1, v0
	s_wait_alu 0xfffd
	v_add_co_ci_u32_e64 v10, null, s19, v10, vcc_lo
	v_add_co_u32 v12, vcc_lo, s16, v15
	s_wait_alu 0xf1ff
	v_add_co_ci_u32_e64 v19, null, 0, 0, s1
	v_add_co_u32 v20, s1, s16, v22
	s_wait_alu 0xfffd
	v_add_co_ci_u32_e64 v13, null, s17, v16, vcc_lo
	v_add_co_u32 v15, vcc_lo, s18, v15
	s_wait_alu 0xf1ff
	v_add_co_ci_u32_e64 v21, null, s17, 0, s1
	v_add_co_u32 v22, s1, s18, v22
	s_wait_alu 0xfffd
	v_add_co_ci_u32_e64 v16, null, s19, v16, vcc_lo
	v_add_co_ci_u32_e64 v17, null, 0, 0, s2
	s_wait_alu 0xf1ff
	v_add_co_ci_u32_e64 v23, null, s19, 0, s1
	s_lshl_b32 s7, s0, 3
	s_mov_b64 s[16:17], 0
	s_branch .LBB46_9
.LBB46_8:                               ;   in Loop: Header=BB46_9 Depth=1
	s_wait_alu 0xfffe
	s_or_b32 exec_lo, exec_lo, s0
	v_add_co_u32 v3, vcc_lo, v3, s7
	s_wait_alu 0xfffd
	v_add_co_ci_u32_e64 v4, null, 0, v4, vcc_lo
	v_add_co_u32 v5, vcc_lo, v5, s7
	s_wait_alu 0xfffd
	v_add_co_ci_u32_e64 v6, null, 0, v6, vcc_lo
	;; [unrolled: 3-line block ×5, first 2 shown]
	v_add_co_u32 v15, vcc_lo, v15, s7
	s_add_nc_u64 s[16:17], s[16:17], s[14:15]
	s_wait_alu 0xfffd
	v_add_co_ci_u32_e64 v16, null, 0, v16, vcc_lo
	v_add_co_u32 v20, vcc_lo, v20, s7
	s_wait_alu 0xfffe
	v_cmp_ge_i64_e64 s0, s[16:17], s[10:11]
	s_wait_alu 0xfffd
	v_add_co_ci_u32_e64 v21, null, 0, v21, vcc_lo
	v_add_co_u32 v22, vcc_lo, v22, s7
	s_wait_alu 0xfffd
	v_add_co_ci_u32_e64 v23, null, 0, v23, vcc_lo
	s_and_b32 vcc_lo, exec_lo, s0
	s_wait_alu 0xfffe
	s_cbranch_vccnz .LBB46_25
.LBB46_9:                               ; =>This Inner Loop Header: Depth=1
	s_wait_alu 0xfffe
	v_add_co_u32 v24, s0, v0, s16
	s_wait_alu 0xf1ff
	v_add_co_ci_u32_e64 v25, null, 0, s17, s0
	s_delay_alu instid0(VALU_DEP_1)
	v_cmp_gt_u64_e32 vcc_lo, s[12:13], v[24:25]
	v_mov_b32_e32 v25, 0
	s_and_saveexec_b32 s1, vcc_lo
	s_cbranch_execz .LBB46_11
; %bb.10:                               ;   in Loop: Header=BB46_9 Depth=1
	v_add_co_u32 v24, s0, v3, s8
	s_wait_alu 0xf1ff
	v_add_co_ci_u32_e64 v25, null, s9, v4, s0
	global_load_u16 v24, v[24:25], off
	s_wait_loadcnt 0x0
	v_cvt_f32_f16_e32 v25, v24
.LBB46_11:                              ;   in Loop: Header=BB46_9 Depth=1
	s_wait_alu 0xfffe
	s_or_b32 exec_lo, exec_lo, s1
	v_add_co_u32 v26, s0, v14, s16
	s_wait_alu 0xf1ff
	v_add_co_ci_u32_e64 v27, null, s17, v17, s0
	v_mov_b32_e32 v24, 0
	s_delay_alu instid0(VALU_DEP_2)
	v_cmp_gt_u64_e64 s0, s[12:13], v[26:27]
	v_mov_b32_e32 v26, 0
	s_and_saveexec_b32 s2, s0
	s_cbranch_execz .LBB46_13
; %bb.12:                               ;   in Loop: Header=BB46_9 Depth=1
	v_add_co_u32 v26, s1, v20, s8
	s_wait_alu 0xf1ff
	v_add_co_ci_u32_e64 v27, null, s9, v21, s1
	global_load_u16 v26, v[26:27], off
	s_wait_loadcnt 0x0
	v_cvt_f32_f16_e32 v26, v26
.LBB46_13:                              ;   in Loop: Header=BB46_9 Depth=1
	s_wait_alu 0xfffe
	s_or_b32 exec_lo, exec_lo, s2
	v_add_co_u32 v27, s1, v18, s16
	s_wait_alu 0xf1ff
	v_add_co_ci_u32_e64 v28, null, s17, v19, s1
	s_delay_alu instid0(VALU_DEP_1)
	v_cmp_gt_u64_e64 s1, s[12:13], v[27:28]
	s_and_saveexec_b32 s3, s1
	s_cbranch_execz .LBB46_15
; %bb.14:                               ;   in Loop: Header=BB46_9 Depth=1
	v_add_co_u32 v27, s2, v12, s8
	s_wait_alu 0xf1ff
	v_add_co_ci_u32_e64 v28, null, s9, v13, s2
	global_load_u16 v24, v[27:28], off
	s_wait_loadcnt 0x0
	v_cvt_f32_f16_e32 v24, v24
.LBB46_15:                              ;   in Loop: Header=BB46_9 Depth=1
	s_wait_alu 0xfffe
	s_or_b32 exec_lo, exec_lo, s3
	v_add_co_u32 v27, s2, v1, s16
	s_wait_alu 0xf1ff
	v_add_co_ci_u32_e64 v28, null, s17, v11, s2
	s_delay_alu instid0(VALU_DEP_1)
	v_cmp_gt_u64_e64 s2, s[12:13], v[27:28]
	v_mov_b32_e32 v27, 0
	s_and_saveexec_b32 s18, s2
	s_cbranch_execz .LBB46_17
; %bb.16:                               ;   in Loop: Header=BB46_9 Depth=1
	v_add_co_u32 v27, s3, v7, s8
	s_wait_alu 0xf1ff
	v_add_co_ci_u32_e64 v28, null, s9, v8, s3
	global_load_u16 v27, v[27:28], off
	s_wait_loadcnt 0x0
	v_cvt_f32_f16_e32 v27, v27
.LBB46_17:                              ;   in Loop: Header=BB46_9 Depth=1
	s_wait_alu 0xfffe
	s_or_b32 exec_lo, exec_lo, s18
	global_load_u16 v28, v2, s[4:5]
	s_wait_loadcnt 0x0
	v_cvt_f32_f16_e32 v28, v28
	s_delay_alu instid0(VALU_DEP_1)
	v_mul_f32_e32 v28, s6, v28
	s_and_saveexec_b32 s3, vcc_lo
	s_cbranch_execnz .LBB46_21
; %bb.18:                               ;   in Loop: Header=BB46_9 Depth=1
	s_wait_alu 0xfffe
	s_or_b32 exec_lo, exec_lo, s3
	s_and_saveexec_b32 s3, s0
	s_cbranch_execnz .LBB46_22
.LBB46_19:                              ;   in Loop: Header=BB46_9 Depth=1
	s_wait_alu 0xfffe
	s_or_b32 exec_lo, exec_lo, s3
	s_and_saveexec_b32 s0, s1
	s_cbranch_execnz .LBB46_23
.LBB46_20:                              ;   in Loop: Header=BB46_9 Depth=1
	s_wait_alu 0xfffe
	s_or_b32 exec_lo, exec_lo, s0
	s_and_saveexec_b32 s0, s2
	s_cbranch_execz .LBB46_8
	s_branch .LBB46_24
.LBB46_21:                              ;   in Loop: Header=BB46_9 Depth=1
	v_add_co_u32 v29, vcc_lo, v5, s8
	s_wait_alu 0xfffd
	v_add_co_ci_u32_e64 v30, null, s9, v6, vcc_lo
	v_fma_mixlo_f16 v25, v25, v28, 0
	global_store_b16 v[29:30], v25, off
	s_wait_alu 0xfffe
	s_or_b32 exec_lo, exec_lo, s3
	s_and_saveexec_b32 s3, s0
	s_cbranch_execz .LBB46_19
.LBB46_22:                              ;   in Loop: Header=BB46_9 Depth=1
	v_add_co_u32 v25, vcc_lo, v22, s8
	v_fma_mixlo_f16 v29, v26, v28, 0
	s_wait_alu 0xfffd
	v_add_co_ci_u32_e64 v26, null, s9, v23, vcc_lo
	global_store_b16 v[25:26], v29, off
	s_wait_alu 0xfffe
	s_or_b32 exec_lo, exec_lo, s3
	s_and_saveexec_b32 s0, s1
	s_cbranch_execz .LBB46_20
.LBB46_23:                              ;   in Loop: Header=BB46_9 Depth=1
	v_fma_mixlo_f16 v26, v24, v28, 0
	v_add_co_u32 v24, vcc_lo, v15, s8
	s_wait_alu 0xfffd
	v_add_co_ci_u32_e64 v25, null, s9, v16, vcc_lo
	global_store_b16 v[24:25], v26, off
	s_wait_alu 0xfffe
	s_or_b32 exec_lo, exec_lo, s0
	s_and_saveexec_b32 s0, s2
	s_cbranch_execz .LBB46_8
.LBB46_24:                              ;   in Loop: Header=BB46_9 Depth=1
	v_add_co_u32 v24, vcc_lo, v9, s8
	v_fma_mixlo_f16 v26, v27, v28, 0
	s_wait_alu 0xfffd
	v_add_co_ci_u32_e64 v25, null, s9, v10, vcc_lo
	global_store_b16 v[24:25], v26, off
	s_branch .LBB46_8
.LBB46_25:
	s_endpgm
	.section	.rodata,"a",@progbits
	.p2align	6, 0x0
	.amdhsa_kernel _ZN2at6native12_GLOBAL__N_125multi_tensor_apply_kernelINS1_18TensorListMetadataILi2EEENS1_27BinaryOpScalarTensorFunctorIN3c104HalfELi2ELi1ELi1EEEJSt10multipliesIfEPS7_fEEEvT_T0_DpT1_
		.amdhsa_group_segment_fixed_size 0
		.amdhsa_private_segment_fixed_size 0
		.amdhsa_kernarg_size 3424
		.amdhsa_user_sgpr_count 2
		.amdhsa_user_sgpr_dispatch_ptr 0
		.amdhsa_user_sgpr_queue_ptr 0
		.amdhsa_user_sgpr_kernarg_segment_ptr 1
		.amdhsa_user_sgpr_dispatch_id 0
		.amdhsa_user_sgpr_private_segment_size 0
		.amdhsa_wavefront_size32 1
		.amdhsa_uses_dynamic_stack 0
		.amdhsa_enable_private_segment 0
		.amdhsa_system_sgpr_workgroup_id_x 1
		.amdhsa_system_sgpr_workgroup_id_y 0
		.amdhsa_system_sgpr_workgroup_id_z 0
		.amdhsa_system_sgpr_workgroup_info 0
		.amdhsa_system_vgpr_workitem_id 0
		.amdhsa_next_free_vgpr 31
		.amdhsa_next_free_sgpr 24
		.amdhsa_reserve_vcc 1
		.amdhsa_float_round_mode_32 0
		.amdhsa_float_round_mode_16_64 0
		.amdhsa_float_denorm_mode_32 3
		.amdhsa_float_denorm_mode_16_64 3
		.amdhsa_fp16_overflow 0
		.amdhsa_workgroup_processor_mode 1
		.amdhsa_memory_ordered 1
		.amdhsa_forward_progress 1
		.amdhsa_inst_pref_size 14
		.amdhsa_round_robin_scheduling 0
		.amdhsa_exception_fp_ieee_invalid_op 0
		.amdhsa_exception_fp_denorm_src 0
		.amdhsa_exception_fp_ieee_div_zero 0
		.amdhsa_exception_fp_ieee_overflow 0
		.amdhsa_exception_fp_ieee_underflow 0
		.amdhsa_exception_fp_ieee_inexact 0
		.amdhsa_exception_int_div_zero 0
	.end_amdhsa_kernel
	.section	.text._ZN2at6native12_GLOBAL__N_125multi_tensor_apply_kernelINS1_18TensorListMetadataILi2EEENS1_27BinaryOpScalarTensorFunctorIN3c104HalfELi2ELi1ELi1EEEJSt10multipliesIfEPS7_fEEEvT_T0_DpT1_,"axG",@progbits,_ZN2at6native12_GLOBAL__N_125multi_tensor_apply_kernelINS1_18TensorListMetadataILi2EEENS1_27BinaryOpScalarTensorFunctorIN3c104HalfELi2ELi1ELi1EEEJSt10multipliesIfEPS7_fEEEvT_T0_DpT1_,comdat
.Lfunc_end46:
	.size	_ZN2at6native12_GLOBAL__N_125multi_tensor_apply_kernelINS1_18TensorListMetadataILi2EEENS1_27BinaryOpScalarTensorFunctorIN3c104HalfELi2ELi1ELi1EEEJSt10multipliesIfEPS7_fEEEvT_T0_DpT1_, .Lfunc_end46-_ZN2at6native12_GLOBAL__N_125multi_tensor_apply_kernelINS1_18TensorListMetadataILi2EEENS1_27BinaryOpScalarTensorFunctorIN3c104HalfELi2ELi1ELi1EEEJSt10multipliesIfEPS7_fEEEvT_T0_DpT1_
                                        ; -- End function
	.set _ZN2at6native12_GLOBAL__N_125multi_tensor_apply_kernelINS1_18TensorListMetadataILi2EEENS1_27BinaryOpScalarTensorFunctorIN3c104HalfELi2ELi1ELi1EEEJSt10multipliesIfEPS7_fEEEvT_T0_DpT1_.num_vgpr, 31
	.set _ZN2at6native12_GLOBAL__N_125multi_tensor_apply_kernelINS1_18TensorListMetadataILi2EEENS1_27BinaryOpScalarTensorFunctorIN3c104HalfELi2ELi1ELi1EEEJSt10multipliesIfEPS7_fEEEvT_T0_DpT1_.num_agpr, 0
	.set _ZN2at6native12_GLOBAL__N_125multi_tensor_apply_kernelINS1_18TensorListMetadataILi2EEENS1_27BinaryOpScalarTensorFunctorIN3c104HalfELi2ELi1ELi1EEEJSt10multipliesIfEPS7_fEEEvT_T0_DpT1_.numbered_sgpr, 24
	.set _ZN2at6native12_GLOBAL__N_125multi_tensor_apply_kernelINS1_18TensorListMetadataILi2EEENS1_27BinaryOpScalarTensorFunctorIN3c104HalfELi2ELi1ELi1EEEJSt10multipliesIfEPS7_fEEEvT_T0_DpT1_.num_named_barrier, 0
	.set _ZN2at6native12_GLOBAL__N_125multi_tensor_apply_kernelINS1_18TensorListMetadataILi2EEENS1_27BinaryOpScalarTensorFunctorIN3c104HalfELi2ELi1ELi1EEEJSt10multipliesIfEPS7_fEEEvT_T0_DpT1_.private_seg_size, 0
	.set _ZN2at6native12_GLOBAL__N_125multi_tensor_apply_kernelINS1_18TensorListMetadataILi2EEENS1_27BinaryOpScalarTensorFunctorIN3c104HalfELi2ELi1ELi1EEEJSt10multipliesIfEPS7_fEEEvT_T0_DpT1_.uses_vcc, 1
	.set _ZN2at6native12_GLOBAL__N_125multi_tensor_apply_kernelINS1_18TensorListMetadataILi2EEENS1_27BinaryOpScalarTensorFunctorIN3c104HalfELi2ELi1ELi1EEEJSt10multipliesIfEPS7_fEEEvT_T0_DpT1_.uses_flat_scratch, 0
	.set _ZN2at6native12_GLOBAL__N_125multi_tensor_apply_kernelINS1_18TensorListMetadataILi2EEENS1_27BinaryOpScalarTensorFunctorIN3c104HalfELi2ELi1ELi1EEEJSt10multipliesIfEPS7_fEEEvT_T0_DpT1_.has_dyn_sized_stack, 0
	.set _ZN2at6native12_GLOBAL__N_125multi_tensor_apply_kernelINS1_18TensorListMetadataILi2EEENS1_27BinaryOpScalarTensorFunctorIN3c104HalfELi2ELi1ELi1EEEJSt10multipliesIfEPS7_fEEEvT_T0_DpT1_.has_recursion, 0
	.set _ZN2at6native12_GLOBAL__N_125multi_tensor_apply_kernelINS1_18TensorListMetadataILi2EEENS1_27BinaryOpScalarTensorFunctorIN3c104HalfELi2ELi1ELi1EEEJSt10multipliesIfEPS7_fEEEvT_T0_DpT1_.has_indirect_call, 0
	.section	.AMDGPU.csdata,"",@progbits
; Kernel info:
; codeLenInByte = 1756
; TotalNumSgprs: 26
; NumVgprs: 31
; ScratchSize: 0
; MemoryBound: 0
; FloatMode: 240
; IeeeMode: 1
; LDSByteSize: 0 bytes/workgroup (compile time only)
; SGPRBlocks: 0
; VGPRBlocks: 3
; NumSGPRsForWavesPerEU: 26
; NumVGPRsForWavesPerEU: 31
; Occupancy: 16
; WaveLimiterHint : 0
; COMPUTE_PGM_RSRC2:SCRATCH_EN: 0
; COMPUTE_PGM_RSRC2:USER_SGPR: 2
; COMPUTE_PGM_RSRC2:TRAP_HANDLER: 0
; COMPUTE_PGM_RSRC2:TGID_X_EN: 1
; COMPUTE_PGM_RSRC2:TGID_Y_EN: 0
; COMPUTE_PGM_RSRC2:TGID_Z_EN: 0
; COMPUTE_PGM_RSRC2:TIDIG_COMP_CNT: 0
	.section	.text._ZN2at6native12_GLOBAL__N_125multi_tensor_apply_kernelINS1_18TensorListMetadataILi2EEENS1_27BinaryOpScalarTensorFunctorIN3c108BFloat16ELi2ELi1ELi1EEEJSt10multipliesIfEPS7_fEEEvT_T0_DpT1_,"axG",@progbits,_ZN2at6native12_GLOBAL__N_125multi_tensor_apply_kernelINS1_18TensorListMetadataILi2EEENS1_27BinaryOpScalarTensorFunctorIN3c108BFloat16ELi2ELi1ELi1EEEJSt10multipliesIfEPS7_fEEEvT_T0_DpT1_,comdat
	.globl	_ZN2at6native12_GLOBAL__N_125multi_tensor_apply_kernelINS1_18TensorListMetadataILi2EEENS1_27BinaryOpScalarTensorFunctorIN3c108BFloat16ELi2ELi1ELi1EEEJSt10multipliesIfEPS7_fEEEvT_T0_DpT1_ ; -- Begin function _ZN2at6native12_GLOBAL__N_125multi_tensor_apply_kernelINS1_18TensorListMetadataILi2EEENS1_27BinaryOpScalarTensorFunctorIN3c108BFloat16ELi2ELi1ELi1EEEJSt10multipliesIfEPS7_fEEEvT_T0_DpT1_
	.p2align	8
	.type	_ZN2at6native12_GLOBAL__N_125multi_tensor_apply_kernelINS1_18TensorListMetadataILi2EEENS1_27BinaryOpScalarTensorFunctorIN3c108BFloat16ELi2ELi1ELi1EEEJSt10multipliesIfEPS7_fEEEvT_T0_DpT1_,@function
_ZN2at6native12_GLOBAL__N_125multi_tensor_apply_kernelINS1_18TensorListMetadataILi2EEENS1_27BinaryOpScalarTensorFunctorIN3c108BFloat16ELi2ELi1ELi1EEEJSt10multipliesIfEPS7_fEEEvT_T0_DpT1_: ; @_ZN2at6native12_GLOBAL__N_125multi_tensor_apply_kernelINS1_18TensorListMetadataILi2EEENS1_27BinaryOpScalarTensorFunctorIN3c108BFloat16ELi2ELi1ELi1EEEJSt10multipliesIfEPS7_fEEEvT_T0_DpT1_
; %bb.0:
	s_mov_b32 s2, ttmp9
	s_mov_b32 s3, 0
	s_delay_alu instid0(SALU_CYCLE_1)
	s_mul_u64 s[4:5], s[2:3], 3
	s_add_nc_u64 s[6:7], s[0:1], s[2:3]
	s_mov_b32 s17, s3
	s_add_nc_u64 s[4:5], s[6:7], s[4:5]
	s_clause 0x1
	s_load_b32 s10, s[4:5], 0x740
	s_load_u8 s2, s[0:1], ttmp9 offset:0x600
	s_mov_b32 s21, s3
	s_wait_kmcnt 0x0
	s_ashr_i32 s11, s10, 31
	s_lshl_b32 s2, s2, 3
	s_clause 0x3
	s_load_b64 s[14:15], s[0:1], s2 offset:0x0
	s_load_b64 s[18:19], s[0:1], s2 offset:0x200
	;; [unrolled: 1-line block ×3, first 2 shown]
	s_load_b96 s[4:6], s[0:1], 0xc50
	s_lshl_b64 s[8:9], s[10:11], 17
	s_lshl_b64 s[10:11], s[10:11], 16
	s_wait_kmcnt 0x0
	s_add_nc_u64 s[22:23], s[14:15], s[8:9]
	s_and_b32 s16, s18, 7
	s_and_b32 s20, s12, 3
	s_and_b32 s2, s22, 7
	s_or_b64 s[16:17], s[16:17], s[20:21]
	s_sub_nc_u64 s[12:13], s[12:13], s[10:11]
	s_or_b64 s[2:3], s[16:17], s[2:3]
	s_delay_alu instid0(SALU_CYCLE_1)
	s_cmp_eq_u64 s[2:3], 0
	s_mov_b32 s2, -1
	s_cbranch_scc0 .LBB47_5
; %bb.1:
	v_cmp_gt_i64_e64 s2, 0x10000, s[12:13]
	v_dual_mov_b32 v2, 0 :: v_dual_lshlrev_b32 v1, 2, v0
	s_mov_b32 s7, exec_lo
	s_and_b32 s2, s2, exec_lo
	s_cselect_b32 s11, s13, 0
	s_cselect_b32 s10, s12, 0x10000
	s_delay_alu instid0(SALU_CYCLE_1)
	v_cmpx_gt_i64_e64 s[10:11], v[1:2]
	s_cbranch_execz .LBB47_4
; %bb.2:
	s_load_b32 s2, s[0:1], 0xc6c
	v_lshlrev_b32_e32 v3, 3, v0
	v_mov_b32_e32 v1, v2
	s_mov_b32 s17, 0
	s_delay_alu instid0(VALU_DEP_2) | instskip(NEXT) | instid1(VALU_DEP_1)
	v_add_co_u32 v5, s3, s8, v3
	v_add_co_ci_u32_e64 v6, null, s9, 0, s3
	s_delay_alu instid0(VALU_DEP_3) | instskip(SKIP_2) | instid1(SALU_CYCLE_1)
	v_dual_mov_b32 v4, v1 :: v_dual_mov_b32 v3, v0
	s_wait_kmcnt 0x0
	s_and_b32 s16, s2, 0xffff
	s_lshl_b32 s20, s16, 3
.LBB47_3:                               ; =>This Inner Loop Header: Depth=1
	v_add_co_u32 v7, vcc_lo, s14, v5
	global_load_u16 v1, v2, s[4:5]
	s_wait_alu 0xfffd
	v_add_co_ci_u32_e64 v8, null, s15, v6, vcc_lo
	v_add_co_u32 v3, vcc_lo, v3, s16
	s_wait_alu 0xfffd
	v_add_co_ci_u32_e64 v4, null, 0, v4, vcc_lo
	global_load_b64 v[7:8], v[7:8], off
	v_add_co_u32 v9, vcc_lo, s18, v5
	s_wait_alu 0xfffd
	v_add_co_ci_u32_e64 v10, null, s19, v6, vcc_lo
	v_lshlrev_b64_e32 v[11:12], 2, v[3:4]
	s_wait_loadcnt 0x1
	v_lshlrev_b32_e32 v1, 16, v1
	s_wait_loadcnt 0x0
	s_delay_alu instid0(VALU_DEP_1) | instskip(SKIP_2) | instid1(VALU_DEP_3)
	v_dual_mul_f32 v1, s6, v1 :: v_dual_and_b32 v14, 0xffff0000, v7
	v_lshlrev_b32_e32 v13, 16, v7
	v_alignbit_b32 v7, v8, v7, 16
	v_mul_f32_e32 v14, v1, v14
	s_delay_alu instid0(VALU_DEP_3) | instskip(NEXT) | instid1(VALU_DEP_3)
	v_dual_mul_f32 v13, v1, v13 :: v_dual_and_b32 v8, 0xffff0000, v8
	v_and_b32_e32 v7, 0xffff0000, v7
	s_delay_alu instid0(VALU_DEP_3) | instskip(NEXT) | instid1(VALU_DEP_3)
	v_bfe_u32 v16, v14, 16, 1
	v_mul_f32_e32 v8, v1, v8
	s_delay_alu instid0(VALU_DEP_4)
	v_bfe_u32 v15, v13, 16, 1
	v_cmp_o_f32_e64 s2, v14, v14
	v_cmp_o_f32_e64 s3, v13, v13
	v_add3_u32 v16, v14, v16, 0x7fff
	v_mul_f32_e32 v1, v1, v7
	v_bfe_u32 v7, v8, 16, 1
	v_add3_u32 v15, v13, v15, 0x7fff
	v_cmp_o_f32_e32 vcc_lo, v8, v8
	v_and_b32_e32 v16, 0xffff0000, v16
	v_bfe_u32 v17, v1, 16, 1
	v_add3_u32 v7, v8, v7, 0x7fff
	v_lshrrev_b32_e32 v15, 16, v15
	s_wait_alu 0xf1ff
	v_cndmask_b32_e64 v13, 0x7fc00000, v16, s2
	v_add3_u32 v17, v1, v17, 0x7fff
	v_and_b32_e32 v7, 0xffff0000, v7
	v_cndmask_b32_e64 v14, 0x7fc0, v15, s3
	v_cmp_le_i64_e64 s2, s[10:11], v[11:12]
	s_delay_alu instid0(VALU_DEP_4)
	v_lshrrev_b32_e32 v8, 16, v17
	s_wait_alu 0xfffd
	v_cndmask_b32_e32 v7, 0x7fc00000, v7, vcc_lo
	v_cmp_o_f32_e32 vcc_lo, v1, v1
	v_or_b32_e32 v13, v14, v13
	s_or_b32 s17, s2, s17
	s_wait_alu 0xfffd
	v_cndmask_b32_e32 v1, 0x7fc0, v8, vcc_lo
	v_add_co_u32 v5, vcc_lo, v5, s20
	s_wait_alu 0xfffd
	v_add_co_ci_u32_e64 v6, null, 0, v6, vcc_lo
	s_delay_alu instid0(VALU_DEP_3)
	v_or3_b32 v8, 0, v1, v7
	v_or3_b32 v7, v13, 0, 0
	global_store_b64 v[9:10], v[7:8], off
	s_wait_alu 0xfffe
	s_and_not1_b32 exec_lo, exec_lo, s17
	s_cbranch_execnz .LBB47_3
.LBB47_4:
	s_or_b32 exec_lo, exec_lo, s7
	s_mov_b32 s2, 0
.LBB47_5:
	s_wait_alu 0xfffe
	s_and_not1_b32 vcc_lo, exec_lo, s2
	s_wait_alu 0xfffe
	s_cbranch_vccnz .LBB47_25
; %bb.6:
	v_cmp_lt_i64_e64 s2, s[12:13], 1
	s_and_b32 vcc_lo, exec_lo, s2
	s_wait_alu 0xfffe
	s_cbranch_vccnz .LBB47_25
; %bb.7:
	s_load_b32 s0, s[0:1], 0xc6c
	v_cmp_gt_i64_e64 s1, 0x10000, s[12:13]
	v_dual_mov_b32 v2, 0 :: v_dual_lshlrev_b32 v1, 1, v0
	v_cmp_gt_u64_e64 s2, 0x10000, s[12:13]
	s_mov_b32 s17, 0
	s_and_b32 s1, s1, exec_lo
	v_add_co_u32 v3, s3, s14, v1
	s_cselect_b32 s11, s13, 0
	s_cselect_b32 s10, s12, 0x10000
	v_add_co_ci_u32_e64 v4, null, s15, 0, s3
	v_add_co_u32 v5, s3, s18, v1
	s_wait_alu 0xf1ff
	v_add_co_ci_u32_e64 v6, null, s19, 0, s3
	s_wait_kmcnt 0x0
	s_and_b32 s0, s0, 0xffff
	s_and_b32 s1, s2, exec_lo
	s_cselect_b32 s13, s13, 0
	s_cselect_b32 s12, s12, 0x10000
	s_mul_i32 s2, s0, 3
	s_lshl_b32 s16, s0, 2
	v_mad_co_u64_u32 v[9:10], null, s0, 6, v[1:2]
	s_wait_alu 0xfffe
	v_add_co_u32 v15, s3, s16, v1
	v_add_co_u32 v1, s2, s2, v0
	s_wait_alu 0xf1ff
	v_add_co_ci_u32_e64 v11, null, 0, 0, s2
	v_add_co_u32 v14, s2, v0, s0
	s_lshl_b32 s1, s0, 1
	v_add_co_u32 v7, vcc_lo, s14, v9
	v_lshlrev_b32_e32 v22, 1, v14
	v_add_co_ci_u32_e64 v16, null, 0, 0, s3
	s_wait_alu 0xfffd
	v_add_co_ci_u32_e64 v8, null, s15, v10, vcc_lo
	v_add_co_u32 v9, vcc_lo, s18, v9
	s_wait_alu 0xfffe
	v_add_co_u32 v18, s1, s1, v0
	s_wait_alu 0xfffd
	v_add_co_ci_u32_e64 v10, null, s19, v10, vcc_lo
	v_add_co_u32 v12, vcc_lo, s14, v15
	s_wait_alu 0xf1ff
	v_add_co_ci_u32_e64 v19, null, 0, 0, s1
	v_add_co_u32 v20, s1, s14, v22
	s_wait_alu 0xfffd
	v_add_co_ci_u32_e64 v13, null, s15, v16, vcc_lo
	v_add_co_u32 v15, vcc_lo, s18, v15
	s_wait_alu 0xf1ff
	v_add_co_ci_u32_e64 v21, null, s15, 0, s1
	v_add_co_u32 v22, s1, s18, v22
	s_wait_alu 0xfffd
	v_add_co_ci_u32_e64 v16, null, s19, v16, vcc_lo
	v_add_co_ci_u32_e64 v17, null, 0, 0, s2
	s_wait_alu 0xf1ff
	v_add_co_ci_u32_e64 v23, null, s19, 0, s1
	s_lshl_b32 s7, s0, 3
	s_mov_b64 s[14:15], 0
	s_branch .LBB47_9
.LBB47_8:                               ;   in Loop: Header=BB47_9 Depth=1
	s_wait_alu 0xfffe
	s_or_b32 exec_lo, exec_lo, s0
	v_add_co_u32 v3, vcc_lo, v3, s7
	s_wait_alu 0xfffd
	v_add_co_ci_u32_e64 v4, null, 0, v4, vcc_lo
	v_add_co_u32 v5, vcc_lo, v5, s7
	s_wait_alu 0xfffd
	v_add_co_ci_u32_e64 v6, null, 0, v6, vcc_lo
	;; [unrolled: 3-line block ×5, first 2 shown]
	v_add_co_u32 v15, vcc_lo, v15, s7
	s_add_nc_u64 s[14:15], s[14:15], s[16:17]
	s_wait_alu 0xfffd
	v_add_co_ci_u32_e64 v16, null, 0, v16, vcc_lo
	v_add_co_u32 v20, vcc_lo, v20, s7
	s_wait_alu 0xfffe
	v_cmp_ge_i64_e64 s0, s[14:15], s[10:11]
	s_wait_alu 0xfffd
	v_add_co_ci_u32_e64 v21, null, 0, v21, vcc_lo
	v_add_co_u32 v22, vcc_lo, v22, s7
	s_wait_alu 0xfffd
	v_add_co_ci_u32_e64 v23, null, 0, v23, vcc_lo
	s_and_b32 vcc_lo, exec_lo, s0
	s_wait_alu 0xfffe
	s_cbranch_vccnz .LBB47_25
.LBB47_9:                               ; =>This Inner Loop Header: Depth=1
	s_wait_alu 0xfffe
	v_add_co_u32 v24, s0, v0, s14
	s_wait_alu 0xf1ff
	v_add_co_ci_u32_e64 v25, null, 0, s15, s0
	s_delay_alu instid0(VALU_DEP_1)
	v_cmp_gt_u64_e32 vcc_lo, s[12:13], v[24:25]
	v_mov_b32_e32 v25, 0
	s_and_saveexec_b32 s1, vcc_lo
	s_cbranch_execz .LBB47_11
; %bb.10:                               ;   in Loop: Header=BB47_9 Depth=1
	v_add_co_u32 v24, s0, v3, s8
	s_wait_alu 0xf1ff
	v_add_co_ci_u32_e64 v25, null, s9, v4, s0
	global_load_u16 v24, v[24:25], off
	s_wait_loadcnt 0x0
	v_lshlrev_b32_e32 v25, 16, v24
.LBB47_11:                              ;   in Loop: Header=BB47_9 Depth=1
	s_wait_alu 0xfffe
	s_or_b32 exec_lo, exec_lo, s1
	v_add_co_u32 v26, s0, v14, s14
	s_wait_alu 0xf1ff
	v_add_co_ci_u32_e64 v27, null, s15, v17, s0
	v_mov_b32_e32 v24, 0
	s_delay_alu instid0(VALU_DEP_2)
	v_cmp_gt_u64_e64 s0, s[12:13], v[26:27]
	v_mov_b32_e32 v26, 0
	s_and_saveexec_b32 s2, s0
	s_cbranch_execz .LBB47_13
; %bb.12:                               ;   in Loop: Header=BB47_9 Depth=1
	v_add_co_u32 v26, s1, v20, s8
	s_wait_alu 0xf1ff
	v_add_co_ci_u32_e64 v27, null, s9, v21, s1
	global_load_u16 v26, v[26:27], off
	s_wait_loadcnt 0x0
	v_lshlrev_b32_e32 v26, 16, v26
.LBB47_13:                              ;   in Loop: Header=BB47_9 Depth=1
	s_wait_alu 0xfffe
	s_or_b32 exec_lo, exec_lo, s2
	v_add_co_u32 v27, s1, v18, s14
	s_wait_alu 0xf1ff
	v_add_co_ci_u32_e64 v28, null, s15, v19, s1
	s_delay_alu instid0(VALU_DEP_1)
	v_cmp_gt_u64_e64 s1, s[12:13], v[27:28]
	s_and_saveexec_b32 s3, s1
	s_cbranch_execz .LBB47_15
; %bb.14:                               ;   in Loop: Header=BB47_9 Depth=1
	v_add_co_u32 v27, s2, v12, s8
	s_wait_alu 0xf1ff
	v_add_co_ci_u32_e64 v28, null, s9, v13, s2
	global_load_u16 v24, v[27:28], off
	s_wait_loadcnt 0x0
	v_lshlrev_b32_e32 v24, 16, v24
.LBB47_15:                              ;   in Loop: Header=BB47_9 Depth=1
	s_wait_alu 0xfffe
	s_or_b32 exec_lo, exec_lo, s3
	v_add_co_u32 v27, s2, v1, s14
	s_wait_alu 0xf1ff
	v_add_co_ci_u32_e64 v28, null, s15, v11, s2
	s_delay_alu instid0(VALU_DEP_1)
	v_cmp_gt_u64_e64 s2, s[12:13], v[27:28]
	v_mov_b32_e32 v27, 0
	s_and_saveexec_b32 s18, s2
	s_cbranch_execz .LBB47_17
; %bb.16:                               ;   in Loop: Header=BB47_9 Depth=1
	v_add_co_u32 v27, s3, v7, s8
	s_wait_alu 0xf1ff
	v_add_co_ci_u32_e64 v28, null, s9, v8, s3
	global_load_u16 v27, v[27:28], off
	s_wait_loadcnt 0x0
	v_lshlrev_b32_e32 v27, 16, v27
.LBB47_17:                              ;   in Loop: Header=BB47_9 Depth=1
	s_wait_alu 0xfffe
	s_or_b32 exec_lo, exec_lo, s18
	global_load_u16 v28, v2, s[4:5]
	s_wait_loadcnt 0x0
	v_lshlrev_b32_e32 v28, 16, v28
	s_delay_alu instid0(VALU_DEP_1)
	v_mul_f32_e32 v28, s6, v28
	s_and_saveexec_b32 s3, vcc_lo
	s_cbranch_execnz .LBB47_21
; %bb.18:                               ;   in Loop: Header=BB47_9 Depth=1
	s_wait_alu 0xfffe
	s_or_b32 exec_lo, exec_lo, s3
	s_and_saveexec_b32 s3, s0
	s_cbranch_execnz .LBB47_22
.LBB47_19:                              ;   in Loop: Header=BB47_9 Depth=1
	s_wait_alu 0xfffe
	s_or_b32 exec_lo, exec_lo, s3
	s_and_saveexec_b32 s0, s1
	s_cbranch_execnz .LBB47_23
.LBB47_20:                              ;   in Loop: Header=BB47_9 Depth=1
	s_wait_alu 0xfffe
	s_or_b32 exec_lo, exec_lo, s0
	s_and_saveexec_b32 s0, s2
	s_cbranch_execz .LBB47_8
	s_branch .LBB47_24
.LBB47_21:                              ;   in Loop: Header=BB47_9 Depth=1
	s_delay_alu instid0(VALU_DEP_1) | instskip(NEXT) | instid1(VALU_DEP_1)
	v_mul_f32_e32 v25, v25, v28
	v_bfe_u32 v29, v25, 16, 1
	v_cmp_o_f32_e32 vcc_lo, v25, v25
	s_delay_alu instid0(VALU_DEP_2) | instskip(NEXT) | instid1(VALU_DEP_1)
	v_add3_u32 v29, v25, v29, 0x7fff
	v_lshrrev_b32_e32 v29, 16, v29
	s_wait_alu 0xfffd
	s_delay_alu instid0(VALU_DEP_1)
	v_cndmask_b32_e32 v25, 0x7fc0, v29, vcc_lo
	v_add_co_u32 v29, vcc_lo, v5, s8
	s_wait_alu 0xfffd
	v_add_co_ci_u32_e64 v30, null, s9, v6, vcc_lo
	global_store_b16 v[29:30], v25, off
	s_wait_alu 0xfffe
	s_or_b32 exec_lo, exec_lo, s3
	s_and_saveexec_b32 s3, s0
	s_cbranch_execz .LBB47_19
.LBB47_22:                              ;   in Loop: Header=BB47_9 Depth=1
	v_mul_f32_e32 v25, v26, v28
	s_delay_alu instid0(VALU_DEP_1) | instskip(SKIP_1) | instid1(VALU_DEP_2)
	v_bfe_u32 v26, v25, 16, 1
	v_cmp_o_f32_e32 vcc_lo, v25, v25
	v_add3_u32 v26, v25, v26, 0x7fff
	s_delay_alu instid0(VALU_DEP_1) | instskip(SKIP_1) | instid1(VALU_DEP_1)
	v_lshrrev_b32_e32 v26, 16, v26
	s_wait_alu 0xfffd
	v_cndmask_b32_e32 v29, 0x7fc0, v26, vcc_lo
	v_add_co_u32 v25, vcc_lo, v22, s8
	s_wait_alu 0xfffd
	v_add_co_ci_u32_e64 v26, null, s9, v23, vcc_lo
	global_store_b16 v[25:26], v29, off
	s_wait_alu 0xfffe
	s_or_b32 exec_lo, exec_lo, s3
	s_and_saveexec_b32 s0, s1
	s_cbranch_execz .LBB47_20
.LBB47_23:                              ;   in Loop: Header=BB47_9 Depth=1
	v_mul_f32_e32 v24, v24, v28
	s_delay_alu instid0(VALU_DEP_1) | instskip(SKIP_1) | instid1(VALU_DEP_2)
	v_bfe_u32 v25, v24, 16, 1
	v_cmp_o_f32_e32 vcc_lo, v24, v24
	v_add3_u32 v25, v24, v25, 0x7fff
	s_delay_alu instid0(VALU_DEP_1) | instskip(SKIP_1) | instid1(VALU_DEP_1)
	v_lshrrev_b32_e32 v25, 16, v25
	s_wait_alu 0xfffd
	v_cndmask_b32_e32 v26, 0x7fc0, v25, vcc_lo
	v_add_co_u32 v24, vcc_lo, v15, s8
	s_wait_alu 0xfffd
	v_add_co_ci_u32_e64 v25, null, s9, v16, vcc_lo
	global_store_b16 v[24:25], v26, off
	s_wait_alu 0xfffe
	s_or_b32 exec_lo, exec_lo, s0
	s_and_saveexec_b32 s0, s2
	s_cbranch_execz .LBB47_8
.LBB47_24:                              ;   in Loop: Header=BB47_9 Depth=1
	v_mul_f32_e32 v24, v27, v28
	s_delay_alu instid0(VALU_DEP_1) | instskip(SKIP_1) | instid1(VALU_DEP_2)
	v_bfe_u32 v25, v24, 16, 1
	v_cmp_o_f32_e32 vcc_lo, v24, v24
	v_add3_u32 v25, v24, v25, 0x7fff
	s_delay_alu instid0(VALU_DEP_1) | instskip(SKIP_1) | instid1(VALU_DEP_1)
	v_lshrrev_b32_e32 v25, 16, v25
	s_wait_alu 0xfffd
	v_cndmask_b32_e32 v26, 0x7fc0, v25, vcc_lo
	v_add_co_u32 v24, vcc_lo, v9, s8
	s_wait_alu 0xfffd
	v_add_co_ci_u32_e64 v25, null, s9, v10, vcc_lo
	global_store_b16 v[24:25], v26, off
	s_branch .LBB47_8
.LBB47_25:
	s_endpgm
	.section	.rodata,"a",@progbits
	.p2align	6, 0x0
	.amdhsa_kernel _ZN2at6native12_GLOBAL__N_125multi_tensor_apply_kernelINS1_18TensorListMetadataILi2EEENS1_27BinaryOpScalarTensorFunctorIN3c108BFloat16ELi2ELi1ELi1EEEJSt10multipliesIfEPS7_fEEEvT_T0_DpT1_
		.amdhsa_group_segment_fixed_size 0
		.amdhsa_private_segment_fixed_size 0
		.amdhsa_kernarg_size 3424
		.amdhsa_user_sgpr_count 2
		.amdhsa_user_sgpr_dispatch_ptr 0
		.amdhsa_user_sgpr_queue_ptr 0
		.amdhsa_user_sgpr_kernarg_segment_ptr 1
		.amdhsa_user_sgpr_dispatch_id 0
		.amdhsa_user_sgpr_private_segment_size 0
		.amdhsa_wavefront_size32 1
		.amdhsa_uses_dynamic_stack 0
		.amdhsa_enable_private_segment 0
		.amdhsa_system_sgpr_workgroup_id_x 1
		.amdhsa_system_sgpr_workgroup_id_y 0
		.amdhsa_system_sgpr_workgroup_id_z 0
		.amdhsa_system_sgpr_workgroup_info 0
		.amdhsa_system_vgpr_workitem_id 0
		.amdhsa_next_free_vgpr 31
		.amdhsa_next_free_sgpr 24
		.amdhsa_reserve_vcc 1
		.amdhsa_float_round_mode_32 0
		.amdhsa_float_round_mode_16_64 0
		.amdhsa_float_denorm_mode_32 3
		.amdhsa_float_denorm_mode_16_64 3
		.amdhsa_fp16_overflow 0
		.amdhsa_workgroup_processor_mode 1
		.amdhsa_memory_ordered 1
		.amdhsa_forward_progress 1
		.amdhsa_inst_pref_size 17
		.amdhsa_round_robin_scheduling 0
		.amdhsa_exception_fp_ieee_invalid_op 0
		.amdhsa_exception_fp_denorm_src 0
		.amdhsa_exception_fp_ieee_div_zero 0
		.amdhsa_exception_fp_ieee_overflow 0
		.amdhsa_exception_fp_ieee_underflow 0
		.amdhsa_exception_fp_ieee_inexact 0
		.amdhsa_exception_int_div_zero 0
	.end_amdhsa_kernel
	.section	.text._ZN2at6native12_GLOBAL__N_125multi_tensor_apply_kernelINS1_18TensorListMetadataILi2EEENS1_27BinaryOpScalarTensorFunctorIN3c108BFloat16ELi2ELi1ELi1EEEJSt10multipliesIfEPS7_fEEEvT_T0_DpT1_,"axG",@progbits,_ZN2at6native12_GLOBAL__N_125multi_tensor_apply_kernelINS1_18TensorListMetadataILi2EEENS1_27BinaryOpScalarTensorFunctorIN3c108BFloat16ELi2ELi1ELi1EEEJSt10multipliesIfEPS7_fEEEvT_T0_DpT1_,comdat
.Lfunc_end47:
	.size	_ZN2at6native12_GLOBAL__N_125multi_tensor_apply_kernelINS1_18TensorListMetadataILi2EEENS1_27BinaryOpScalarTensorFunctorIN3c108BFloat16ELi2ELi1ELi1EEEJSt10multipliesIfEPS7_fEEEvT_T0_DpT1_, .Lfunc_end47-_ZN2at6native12_GLOBAL__N_125multi_tensor_apply_kernelINS1_18TensorListMetadataILi2EEENS1_27BinaryOpScalarTensorFunctorIN3c108BFloat16ELi2ELi1ELi1EEEJSt10multipliesIfEPS7_fEEEvT_T0_DpT1_
                                        ; -- End function
	.set _ZN2at6native12_GLOBAL__N_125multi_tensor_apply_kernelINS1_18TensorListMetadataILi2EEENS1_27BinaryOpScalarTensorFunctorIN3c108BFloat16ELi2ELi1ELi1EEEJSt10multipliesIfEPS7_fEEEvT_T0_DpT1_.num_vgpr, 31
	.set _ZN2at6native12_GLOBAL__N_125multi_tensor_apply_kernelINS1_18TensorListMetadataILi2EEENS1_27BinaryOpScalarTensorFunctorIN3c108BFloat16ELi2ELi1ELi1EEEJSt10multipliesIfEPS7_fEEEvT_T0_DpT1_.num_agpr, 0
	.set _ZN2at6native12_GLOBAL__N_125multi_tensor_apply_kernelINS1_18TensorListMetadataILi2EEENS1_27BinaryOpScalarTensorFunctorIN3c108BFloat16ELi2ELi1ELi1EEEJSt10multipliesIfEPS7_fEEEvT_T0_DpT1_.numbered_sgpr, 24
	.set _ZN2at6native12_GLOBAL__N_125multi_tensor_apply_kernelINS1_18TensorListMetadataILi2EEENS1_27BinaryOpScalarTensorFunctorIN3c108BFloat16ELi2ELi1ELi1EEEJSt10multipliesIfEPS7_fEEEvT_T0_DpT1_.num_named_barrier, 0
	.set _ZN2at6native12_GLOBAL__N_125multi_tensor_apply_kernelINS1_18TensorListMetadataILi2EEENS1_27BinaryOpScalarTensorFunctorIN3c108BFloat16ELi2ELi1ELi1EEEJSt10multipliesIfEPS7_fEEEvT_T0_DpT1_.private_seg_size, 0
	.set _ZN2at6native12_GLOBAL__N_125multi_tensor_apply_kernelINS1_18TensorListMetadataILi2EEENS1_27BinaryOpScalarTensorFunctorIN3c108BFloat16ELi2ELi1ELi1EEEJSt10multipliesIfEPS7_fEEEvT_T0_DpT1_.uses_vcc, 1
	.set _ZN2at6native12_GLOBAL__N_125multi_tensor_apply_kernelINS1_18TensorListMetadataILi2EEENS1_27BinaryOpScalarTensorFunctorIN3c108BFloat16ELi2ELi1ELi1EEEJSt10multipliesIfEPS7_fEEEvT_T0_DpT1_.uses_flat_scratch, 0
	.set _ZN2at6native12_GLOBAL__N_125multi_tensor_apply_kernelINS1_18TensorListMetadataILi2EEENS1_27BinaryOpScalarTensorFunctorIN3c108BFloat16ELi2ELi1ELi1EEEJSt10multipliesIfEPS7_fEEEvT_T0_DpT1_.has_dyn_sized_stack, 0
	.set _ZN2at6native12_GLOBAL__N_125multi_tensor_apply_kernelINS1_18TensorListMetadataILi2EEENS1_27BinaryOpScalarTensorFunctorIN3c108BFloat16ELi2ELi1ELi1EEEJSt10multipliesIfEPS7_fEEEvT_T0_DpT1_.has_recursion, 0
	.set _ZN2at6native12_GLOBAL__N_125multi_tensor_apply_kernelINS1_18TensorListMetadataILi2EEENS1_27BinaryOpScalarTensorFunctorIN3c108BFloat16ELi2ELi1ELi1EEEJSt10multipliesIfEPS7_fEEEvT_T0_DpT1_.has_indirect_call, 0
	.section	.AMDGPU.csdata,"",@progbits
; Kernel info:
; codeLenInByte = 2168
; TotalNumSgprs: 26
; NumVgprs: 31
; ScratchSize: 0
; MemoryBound: 0
; FloatMode: 240
; IeeeMode: 1
; LDSByteSize: 0 bytes/workgroup (compile time only)
; SGPRBlocks: 0
; VGPRBlocks: 3
; NumSGPRsForWavesPerEU: 26
; NumVGPRsForWavesPerEU: 31
; Occupancy: 16
; WaveLimiterHint : 0
; COMPUTE_PGM_RSRC2:SCRATCH_EN: 0
; COMPUTE_PGM_RSRC2:USER_SGPR: 2
; COMPUTE_PGM_RSRC2:TRAP_HANDLER: 0
; COMPUTE_PGM_RSRC2:TGID_X_EN: 1
; COMPUTE_PGM_RSRC2:TGID_Y_EN: 0
; COMPUTE_PGM_RSRC2:TGID_Z_EN: 0
; COMPUTE_PGM_RSRC2:TIDIG_COMP_CNT: 0
	.section	.text._ZN2at6native12_GLOBAL__N_125multi_tensor_apply_kernelINS1_18TensorListMetadataILi1EEENS1_27BinaryOpScalarTensorFunctorIhLi1ELi1ELi0EEEJSt7dividesIhEPhhEEEvT_T0_DpT1_,"axG",@progbits,_ZN2at6native12_GLOBAL__N_125multi_tensor_apply_kernelINS1_18TensorListMetadataILi1EEENS1_27BinaryOpScalarTensorFunctorIhLi1ELi1ELi0EEEJSt7dividesIhEPhhEEEvT_T0_DpT1_,comdat
	.globl	_ZN2at6native12_GLOBAL__N_125multi_tensor_apply_kernelINS1_18TensorListMetadataILi1EEENS1_27BinaryOpScalarTensorFunctorIhLi1ELi1ELi0EEEJSt7dividesIhEPhhEEEvT_T0_DpT1_ ; -- Begin function _ZN2at6native12_GLOBAL__N_125multi_tensor_apply_kernelINS1_18TensorListMetadataILi1EEENS1_27BinaryOpScalarTensorFunctorIhLi1ELi1ELi0EEEJSt7dividesIhEPhhEEEvT_T0_DpT1_
	.p2align	8
	.type	_ZN2at6native12_GLOBAL__N_125multi_tensor_apply_kernelINS1_18TensorListMetadataILi1EEENS1_27BinaryOpScalarTensorFunctorIhLi1ELi1ELi0EEEJSt7dividesIhEPhhEEEvT_T0_DpT1_,@function
_ZN2at6native12_GLOBAL__N_125multi_tensor_apply_kernelINS1_18TensorListMetadataILi1EEENS1_27BinaryOpScalarTensorFunctorIhLi1ELi1ELi0EEEJSt7dividesIhEPhhEEEvT_T0_DpT1_: ; @_ZN2at6native12_GLOBAL__N_125multi_tensor_apply_kernelINS1_18TensorListMetadataILi1EEENS1_27BinaryOpScalarTensorFunctorIhLi1ELi1ELi0EEEJSt7dividesIhEPhhEEEvT_T0_DpT1_
; %bb.0:
	s_mov_b32 s2, ttmp9
	s_mov_b32 s3, 0
	s_delay_alu instid0(SALU_CYCLE_1) | instskip(SKIP_1) | instid1(SALU_CYCLE_1)
	s_mul_u64 s[4:5], s[2:3], 3
	s_add_nc_u64 s[2:3], s[0:1], s[2:3]
	s_add_nc_u64 s[2:3], s[2:3], s[4:5]
	s_clause 0x1
	s_load_b32 s2, s[2:3], 0x820
	s_load_u8 s3, s[0:1], ttmp9 offset:0x6e0
	s_wait_kmcnt 0x0
	s_lshl_b32 s3, s3, 3
	s_clause 0x2
	s_load_b64 s[4:5], s[0:1], s3 offset:0x370
	s_load_b64 s[6:7], s[0:1], s3 offset:0x0
	s_load_b96 s[8:10], s[0:1], 0xd30
	s_ashr_i32 s3, s2, 31
	s_delay_alu instid0(SALU_CYCLE_1) | instskip(SKIP_3) | instid1(SALU_CYCLE_1)
	s_lshl_b64 s[12:13], s[2:3], 16
	s_wait_kmcnt 0x0
	s_sub_nc_u64 s[14:15], s[4:5], s[12:13]
	s_or_b32 s11, s4, s6
	s_and_b32 s11, s11, 3
	s_delay_alu instid0(SALU_CYCLE_1)
	s_cmp_eq_u32 s11, 0
	s_cbranch_scc1 .LBB48_21
; %bb.1:
	v_cmp_lt_i64_e64 s2, s[14:15], 1
	s_and_b32 vcc_lo, exec_lo, s2
	s_cbranch_vccnz .LBB48_20
; %bb.2:
	s_load_b32 s2, s[0:1], 0xd4c
	v_cmp_gt_i64_e64 s4, 0x10000, s[14:15]
	s_mov_b32 s21, 0
	v_cmp_gt_u64_e64 s11, 0x10000, s[14:15]
	s_mov_b32 s5, s21
	v_add_co_u32 v12, s3, s12, v0
	s_and_b32 s4, s4, exec_lo
	s_cselect_b32 s17, s15, 0
	s_cselect_b32 s16, s14, 0x10000
	v_add_co_ci_u32_e64 v13, null, s13, 0, s3
	s_mov_b32 s3, s21
	v_add_co_u32 v2, vcc_lo, s6, v12
	s_delay_alu instid0(VALU_DEP_1)
	v_add_co_ci_u32_e64 v3, null, s7, v13, vcc_lo
	v_dual_mov_b32 v1, 0 :: v_dual_mov_b32 v16, 0
	s_wait_kmcnt 0x0
	s_and_b32 s20, s2, 0xffff
	s_and_b32 s2, s11, exec_lo
	s_mul_i32 s4, s20, 3
	s_cselect_b32 s19, s15, 0
	s_add_nc_u64 s[22:23], s[12:13], s[4:5]
	s_cselect_b32 s18, s14, 0x10000
	s_add_nc_u64 s[22:23], s[6:7], s[22:23]
	s_lshl_b32 s2, s20, 1
	v_add_co_u32 v4, s5, s22, v0
	s_delay_alu instid0(VALU_DEP_1)
	v_add_co_ci_u32_e64 v5, null, s23, 0, s5
	s_wait_alu 0xfffe
	s_add_nc_u64 s[22:23], s[12:13], s[2:3]
	v_add_co_u32 v6, s3, s4, v0
	s_wait_alu 0xfffe
	s_add_nc_u64 s[4:5], s[6:7], s[22:23]
	v_add_co_ci_u32_e64 v7, null, 0, 0, s3
	s_wait_alu 0xfffe
	v_add_co_u32 v8, s3, s4, v0
	v_add_co_u32 v10, s2, s2, v0
	s_wait_alu 0xf1ff
	v_add_co_ci_u32_e64 v9, null, s5, 0, s3
	v_add_co_ci_u32_e64 v11, null, 0, 0, s2
	s_add_nc_u64 s[2:3], s[6:7], s[20:21]
	s_mov_b64 s[22:23], 0
	s_wait_alu 0xfffe
	v_add_co_u32 v12, vcc_lo, s2, v12
	v_add_co_u32 v14, s2, v0, s20
	s_wait_alu 0xfffd
	v_add_co_ci_u32_e64 v13, null, s3, v13, vcc_lo
	s_wait_alu 0xf1ff
	v_add_co_ci_u32_e64 v15, null, 0, 0, s2
	s_lshl_b32 s20, s20, 2
	s_branch .LBB48_4
.LBB48_3:                               ;   in Loop: Header=BB48_4 Depth=1
	s_wait_alu 0xfffe
	s_or_b32 exec_lo, exec_lo, s2
	v_lshlrev_b16 v18, 8, v20
	v_lshlrev_b16 v16, 8, v16
	s_add_nc_u64 s[22:23], s[22:23], s[20:21]
	s_wait_alu 0xfffe
	v_cmp_lt_i64_e64 s2, s[22:23], s[16:17]
	v_or_b32_e32 v17, v17, v18
	v_or_b32_e32 v16, v21, v16
	s_and_b32 vcc_lo, exec_lo, s2
	s_delay_alu instid0(VALU_DEP_2) | instskip(NEXT) | instid1(VALU_DEP_2)
	v_and_b32_e32 v17, 0xffff, v17
	v_lshlrev_b32_e32 v16, 16, v16
	s_delay_alu instid0(VALU_DEP_1)
	v_or_b32_e32 v16, v17, v16
	s_wait_alu 0xfffe
	s_cbranch_vccz .LBB48_20
.LBB48_4:                               ; =>This Inner Loop Header: Depth=1
	v_add_co_u32 v17, s2, v0, s22
	s_wait_alu 0xf1ff
	v_add_co_ci_u32_e64 v18, null, 0, s23, s2
	v_and_b32_e32 v16, 0xffffff00, v16
	s_delay_alu instid0(VALU_DEP_2)
	v_cmp_gt_u64_e32 vcc_lo, s[18:19], v[17:18]
	s_and_saveexec_b32 s3, vcc_lo
	s_cbranch_execz .LBB48_6
; %bb.5:                                ;   in Loop: Header=BB48_4 Depth=1
	v_add_co_u32 v17, s2, v2, s22
	s_wait_alu 0xf1ff
	v_add_co_ci_u32_e64 v18, null, s23, v3, s2
	global_load_u8 v17, v[17:18], off
	s_wait_loadcnt 0x0
	v_perm_b32 v16, v17, v16, 0x3020104
.LBB48_6:                               ;   in Loop: Header=BB48_4 Depth=1
	s_wait_alu 0xfffe
	s_or_b32 exec_lo, exec_lo, s3
	v_add_co_u32 v17, s2, v14, s22
	s_wait_alu 0xf1ff
	v_add_co_ci_u32_e64 v18, null, s23, v15, s2
	v_and_b32_e32 v16, 0xffff00ff, v16
	s_delay_alu instid0(VALU_DEP_2)
	v_cmp_gt_u64_e64 s2, s[18:19], v[17:18]
	s_and_saveexec_b32 s4, s2
	s_cbranch_execz .LBB48_8
; %bb.7:                                ;   in Loop: Header=BB48_4 Depth=1
	v_add_co_u32 v17, s3, v12, s22
	s_wait_alu 0xf1ff
	v_add_co_ci_u32_e64 v18, null, s23, v13, s3
	global_load_u8 v17, v[17:18], off
	s_wait_loadcnt 0x0
	v_perm_b32 v16, v16, v17, 0x7060004
.LBB48_8:                               ;   in Loop: Header=BB48_4 Depth=1
	s_wait_alu 0xfffe
	s_or_b32 exec_lo, exec_lo, s4
	v_add_co_u32 v17, s3, v10, s22
	s_wait_alu 0xf1ff
	v_add_co_ci_u32_e64 v18, null, s23, v11, s3
	v_and_b32_e32 v16, 0xff00ffff, v16
	s_delay_alu instid0(VALU_DEP_2)
	v_cmp_gt_u64_e64 s3, s[18:19], v[17:18]
	s_and_saveexec_b32 s5, s3
	s_cbranch_execz .LBB48_10
; %bb.9:                                ;   in Loop: Header=BB48_4 Depth=1
	v_add_co_u32 v17, s4, v8, s22
	s_wait_alu 0xf1ff
	v_add_co_ci_u32_e64 v18, null, s23, v9, s4
	global_load_u8 v17, v[17:18], off
	s_wait_loadcnt 0x0
	v_perm_b32 v16, v16, v17, 0x7000504
.LBB48_10:                              ;   in Loop: Header=BB48_4 Depth=1
	s_wait_alu 0xfffe
	s_or_b32 exec_lo, exec_lo, s5
	v_add_co_u32 v17, s4, v6, s22
	s_wait_alu 0xf1ff
	v_add_co_ci_u32_e64 v18, null, s23, v7, s4
	v_and_b32_e32 v16, 0xffffff, v16
	s_delay_alu instid0(VALU_DEP_2)
	v_cmp_gt_u64_e64 s4, s[18:19], v[17:18]
	s_and_saveexec_b32 s11, s4
	s_cbranch_execz .LBB48_12
; %bb.11:                               ;   in Loop: Header=BB48_4 Depth=1
	v_add_co_u32 v17, s5, v4, s22
	s_wait_alu 0xf1ff
	v_add_co_ci_u32_e64 v18, null, s23, v5, s5
	global_load_u8 v17, v[17:18], off
	v_lshrrev_b32_e32 v18, 16, v16
	s_wait_loadcnt 0x0
	v_lshlrev_b16 v17, 8, v17
	s_delay_alu instid0(VALU_DEP_1) | instskip(NEXT) | instid1(VALU_DEP_1)
	v_or_b32_e32 v17, v18, v17
	v_lshlrev_b32_e32 v17, 16, v17
	s_delay_alu instid0(VALU_DEP_1)
	v_and_or_b32 v16, 0xffff, v16, v17
.LBB48_12:                              ;   in Loop: Header=BB48_4 Depth=1
	s_wait_alu 0xfffe
	s_or_b32 exec_lo, exec_lo, s11
	global_load_u8 v17, v1, s[8:9]
	s_wait_loadcnt 0x0
	v_mul_lo_u32 v17, v17, s10
	s_delay_alu instid0(VALU_DEP_1) | instskip(SKIP_1) | instid1(VALU_DEP_2)
	v_cvt_f32_ubyte0_e32 v18, v17
	v_cvt_f32_ubyte0_e32 v17, v16
	v_rcp_iflag_f32_e32 v19, v18
	s_delay_alu instid0(TRANS32_DEP_1) | instskip(NEXT) | instid1(VALU_DEP_1)
	v_mul_f32_e32 v20, v17, v19
	v_trunc_f32_e32 v20, v20
	s_delay_alu instid0(VALU_DEP_1) | instskip(SKIP_1) | instid1(VALU_DEP_2)
	v_fma_f32 v17, -v20, v18, v17
	v_cvt_u32_f32_e32 v20, v20
	v_cmp_ge_f32_e64 s5, |v17|, v18
	s_wait_alu 0xf1ff
	s_delay_alu instid0(VALU_DEP_1) | instskip(NEXT) | instid1(VALU_DEP_1)
	v_add_co_ci_u32_e64 v17, null, 0, v20, s5
	v_and_b32_e32 v17, 0xff, v17
	s_and_saveexec_b32 s5, vcc_lo
	s_cbranch_execz .LBB48_14
; %bb.13:                               ;   in Loop: Header=BB48_4 Depth=1
	v_add_co_u32 v20, vcc_lo, v2, s22
	s_wait_alu 0xfffd
	v_add_co_ci_u32_e64 v21, null, s23, v3, vcc_lo
	global_store_b8 v[20:21], v17, off
.LBB48_14:                              ;   in Loop: Header=BB48_4 Depth=1
	s_wait_alu 0xfffe
	s_or_b32 exec_lo, exec_lo, s5
	v_cvt_f32_ubyte1_e32 v20, v16
	s_delay_alu instid0(VALU_DEP_1) | instskip(NEXT) | instid1(VALU_DEP_1)
	v_mul_f32_e32 v21, v20, v19
	v_trunc_f32_e32 v21, v21
	s_delay_alu instid0(VALU_DEP_1) | instskip(SKIP_1) | instid1(VALU_DEP_2)
	v_fma_f32 v20, -v21, v18, v20
	v_cvt_u32_f32_e32 v21, v21
	v_cmp_ge_f32_e64 vcc_lo, |v20|, v18
	s_wait_alu 0xfffd
	s_delay_alu instid0(VALU_DEP_1) | instskip(NEXT) | instid1(VALU_DEP_1)
	v_add_co_ci_u32_e64 v20, null, 0, v21, vcc_lo
	v_and_b32_e32 v20, 0xff, v20
	s_and_saveexec_b32 s5, s2
	s_cbranch_execz .LBB48_16
; %bb.15:                               ;   in Loop: Header=BB48_4 Depth=1
	v_add_co_u32 v21, vcc_lo, v12, s22
	s_wait_alu 0xfffd
	v_add_co_ci_u32_e64 v22, null, s23, v13, vcc_lo
	global_store_b8 v[21:22], v20, off
.LBB48_16:                              ;   in Loop: Header=BB48_4 Depth=1
	s_wait_alu 0xfffe
	s_or_b32 exec_lo, exec_lo, s5
	v_cvt_f32_ubyte2_e32 v21, v16
	s_delay_alu instid0(VALU_DEP_1) | instskip(NEXT) | instid1(VALU_DEP_1)
	v_mul_f32_e32 v22, v21, v19
	v_trunc_f32_e32 v22, v22
	s_delay_alu instid0(VALU_DEP_1) | instskip(SKIP_1) | instid1(VALU_DEP_2)
	v_fma_f32 v21, -v22, v18, v21
	v_cvt_u32_f32_e32 v22, v22
	v_cmp_ge_f32_e64 vcc_lo, |v21|, v18
	s_wait_alu 0xfffd
	s_delay_alu instid0(VALU_DEP_1) | instskip(NEXT) | instid1(VALU_DEP_1)
	v_add_co_ci_u32_e64 v21, null, 0, v22, vcc_lo
	v_and_b32_e32 v21, 0xff, v21
	s_and_saveexec_b32 s2, s3
	s_cbranch_execz .LBB48_18
; %bb.17:                               ;   in Loop: Header=BB48_4 Depth=1
	v_add_co_u32 v22, vcc_lo, v8, s22
	s_wait_alu 0xfffd
	v_add_co_ci_u32_e64 v23, null, s23, v9, vcc_lo
	global_store_b8 v[22:23], v21, off
.LBB48_18:                              ;   in Loop: Header=BB48_4 Depth=1
	s_wait_alu 0xfffe
	s_or_b32 exec_lo, exec_lo, s2
	v_cvt_f32_ubyte3_e32 v16, v16
	s_delay_alu instid0(VALU_DEP_1) | instskip(NEXT) | instid1(VALU_DEP_1)
	v_mul_f32_e32 v19, v16, v19
	v_trunc_f32_e32 v19, v19
	s_delay_alu instid0(VALU_DEP_1) | instskip(SKIP_1) | instid1(VALU_DEP_2)
	v_fma_f32 v16, -v19, v18, v16
	v_cvt_u32_f32_e32 v19, v19
	v_cmp_ge_f32_e64 vcc_lo, |v16|, v18
	s_wait_alu 0xfffd
	s_delay_alu instid0(VALU_DEP_1) | instskip(NEXT) | instid1(VALU_DEP_1)
	v_add_co_ci_u32_e64 v16, null, 0, v19, vcc_lo
	v_and_b32_e32 v16, 0xff, v16
	s_and_saveexec_b32 s2, s4
	s_cbranch_execz .LBB48_3
; %bb.19:                               ;   in Loop: Header=BB48_4 Depth=1
	v_add_co_u32 v18, vcc_lo, v4, s22
	s_wait_alu 0xfffd
	v_add_co_ci_u32_e64 v19, null, s23, v5, vcc_lo
	global_store_b8 v[18:19], v16, off
	s_branch .LBB48_3
.LBB48_20:
	s_cbranch_execz .LBB48_22
	s_branch .LBB48_25
.LBB48_21:
.LBB48_22:
	v_cmp_gt_i64_e64 s2, 0x10000, s[14:15]
	v_dual_mov_b32 v3, 0 :: v_dual_lshlrev_b32 v2, 2, v0
	s_mov_b32 s4, 0
	s_mov_b32 s5, exec_lo
	s_and_b32 s2, s2, exec_lo
	s_cselect_b32 s3, s15, 0
	s_cselect_b32 s2, s14, 0x10000
	s_wait_alu 0xfffe
	v_cmpx_gt_i64_e64 s[2:3], v[2:3]
	s_cbranch_execz .LBB48_25
; %bb.23:
	s_load_b32 s5, s[0:1], 0xd4c
	s_add_nc_u64 s[0:1], s[6:7], s[12:13]
	v_mov_b32_e32 v1, v3
	v_add_co_u32 v4, s0, s0, v2
	s_wait_alu 0xf1ff
	v_add_co_ci_u32_e64 v5, null, s1, 0, s0
	s_wait_kmcnt 0x0
	s_and_b32 s1, s5, 0xffff
	s_wait_alu 0xfffe
	s_lshl_b32 s5, s1, 2
.LBB48_24:                              ; =>This Inner Loop Header: Depth=1
	global_load_u8 v2, v3, s[8:9]
	global_load_b32 v8, v[4:5], off
	v_add_co_u32 v0, vcc_lo, v0, s1
	s_wait_alu 0xfffd
	v_add_co_ci_u32_e64 v1, null, 0, v1, vcc_lo
	s_delay_alu instid0(VALU_DEP_1) | instskip(NEXT) | instid1(VALU_DEP_1)
	v_lshlrev_b64_e32 v[6:7], 2, v[0:1]
	v_cmp_le_i64_e32 vcc_lo, s[2:3], v[6:7]
	s_or_b32 s4, vcc_lo, s4
	s_wait_loadcnt 0x1
	v_mul_lo_u32 v2, v2, s10
	s_wait_loadcnt 0x0
	v_cvt_f32_ubyte0_e32 v6, v8
	v_cvt_f32_ubyte1_e32 v7, v8
	v_cvt_f32_ubyte2_e32 v9, v8
	v_cvt_f32_ubyte3_e32 v8, v8
	v_cvt_f32_ubyte0_e32 v2, v2
	s_delay_alu instid0(VALU_DEP_1) | instskip(NEXT) | instid1(TRANS32_DEP_1)
	v_rcp_iflag_f32_e32 v10, v2
	v_mul_f32_e32 v11, v6, v10
	v_mul_f32_e32 v12, v7, v10
	;; [unrolled: 1-line block ×4, first 2 shown]
	s_delay_alu instid0(VALU_DEP_4) | instskip(NEXT) | instid1(VALU_DEP_4)
	v_trunc_f32_e32 v11, v11
	v_trunc_f32_e32 v12, v12
	s_delay_alu instid0(VALU_DEP_4) | instskip(NEXT) | instid1(VALU_DEP_4)
	v_trunc_f32_e32 v13, v13
	v_trunc_f32_e32 v10, v10
	s_delay_alu instid0(VALU_DEP_4)
	v_fma_f32 v6, -v11, v2, v6
	v_cvt_u32_f32_e32 v11, v11
	v_fma_f32 v7, -v12, v2, v7
	v_cvt_u32_f32_e32 v12, v12
	v_fma_f32 v8, -v10, v2, v8
	v_cmp_ge_f32_e64 s0, |v6|, v2
	v_fma_f32 v9, -v13, v2, v9
	v_cvt_u32_f32_e32 v10, v10
	v_cvt_u32_f32_e32 v13, v13
	s_wait_alu 0xf1ff
	v_add_co_ci_u32_e64 v6, null, 0, v11, s0
	v_cmp_ge_f32_e64 s0, |v7|, v2
	s_delay_alu instid0(VALU_DEP_2) | instskip(SKIP_1) | instid1(VALU_DEP_2)
	v_and_b32_e32 v6, 0xff, v6
	s_wait_alu 0xf1ff
	v_add_co_ci_u32_e64 v7, null, 0, v12, s0
	v_cmp_ge_f32_e64 s0, |v8|, v2
	s_delay_alu instid0(VALU_DEP_2) | instskip(SKIP_1) | instid1(VALU_DEP_2)
	v_lshlrev_b16 v7, 8, v7
	s_wait_alu 0xf1ff
	v_add_co_ci_u32_e64 v8, null, 0, v10, s0
	v_cmp_ge_f32_e64 s0, |v9|, v2
	s_delay_alu instid0(VALU_DEP_3) | instskip(NEXT) | instid1(VALU_DEP_3)
	v_or_b32_e32 v6, v6, v7
	v_lshlrev_b16 v8, 8, v8
	s_wait_alu 0xf1ff
	s_delay_alu instid0(VALU_DEP_3) | instskip(NEXT) | instid1(VALU_DEP_3)
	v_add_co_ci_u32_e64 v2, null, 0, v13, s0
	v_and_b32_e32 v6, 0xffff, v6
	s_delay_alu instid0(VALU_DEP_2) | instskip(NEXT) | instid1(VALU_DEP_1)
	v_and_b32_e32 v2, 0xff, v2
	v_or_b32_e32 v2, v2, v8
	s_delay_alu instid0(VALU_DEP_1) | instskip(NEXT) | instid1(VALU_DEP_1)
	v_lshlrev_b32_e32 v2, 16, v2
	v_or_b32_e32 v2, v6, v2
	global_store_b32 v[4:5], v2, off
	s_wait_alu 0xfffe
	v_add_co_u32 v4, s0, v4, s5
	s_wait_alu 0xf1ff
	v_add_co_ci_u32_e64 v5, null, 0, v5, s0
	s_and_not1_b32 exec_lo, exec_lo, s4
	s_cbranch_execnz .LBB48_24
.LBB48_25:
	s_endpgm
	.section	.rodata,"a",@progbits
	.p2align	6, 0x0
	.amdhsa_kernel _ZN2at6native12_GLOBAL__N_125multi_tensor_apply_kernelINS1_18TensorListMetadataILi1EEENS1_27BinaryOpScalarTensorFunctorIhLi1ELi1ELi0EEEJSt7dividesIhEPhhEEEvT_T0_DpT1_
		.amdhsa_group_segment_fixed_size 0
		.amdhsa_private_segment_fixed_size 0
		.amdhsa_kernarg_size 3648
		.amdhsa_user_sgpr_count 2
		.amdhsa_user_sgpr_dispatch_ptr 0
		.amdhsa_user_sgpr_queue_ptr 0
		.amdhsa_user_sgpr_kernarg_segment_ptr 1
		.amdhsa_user_sgpr_dispatch_id 0
		.amdhsa_user_sgpr_private_segment_size 0
		.amdhsa_wavefront_size32 1
		.amdhsa_uses_dynamic_stack 0
		.amdhsa_enable_private_segment 0
		.amdhsa_system_sgpr_workgroup_id_x 1
		.amdhsa_system_sgpr_workgroup_id_y 0
		.amdhsa_system_sgpr_workgroup_id_z 0
		.amdhsa_system_sgpr_workgroup_info 0
		.amdhsa_system_vgpr_workitem_id 0
		.amdhsa_next_free_vgpr 24
		.amdhsa_next_free_sgpr 24
		.amdhsa_reserve_vcc 1
		.amdhsa_float_round_mode_32 0
		.amdhsa_float_round_mode_16_64 0
		.amdhsa_float_denorm_mode_32 3
		.amdhsa_float_denorm_mode_16_64 3
		.amdhsa_fp16_overflow 0
		.amdhsa_workgroup_processor_mode 1
		.amdhsa_memory_ordered 1
		.amdhsa_forward_progress 1
		.amdhsa_inst_pref_size 16
		.amdhsa_round_robin_scheduling 0
		.amdhsa_exception_fp_ieee_invalid_op 0
		.amdhsa_exception_fp_denorm_src 0
		.amdhsa_exception_fp_ieee_div_zero 0
		.amdhsa_exception_fp_ieee_overflow 0
		.amdhsa_exception_fp_ieee_underflow 0
		.amdhsa_exception_fp_ieee_inexact 0
		.amdhsa_exception_int_div_zero 0
	.end_amdhsa_kernel
	.section	.text._ZN2at6native12_GLOBAL__N_125multi_tensor_apply_kernelINS1_18TensorListMetadataILi1EEENS1_27BinaryOpScalarTensorFunctorIhLi1ELi1ELi0EEEJSt7dividesIhEPhhEEEvT_T0_DpT1_,"axG",@progbits,_ZN2at6native12_GLOBAL__N_125multi_tensor_apply_kernelINS1_18TensorListMetadataILi1EEENS1_27BinaryOpScalarTensorFunctorIhLi1ELi1ELi0EEEJSt7dividesIhEPhhEEEvT_T0_DpT1_,comdat
.Lfunc_end48:
	.size	_ZN2at6native12_GLOBAL__N_125multi_tensor_apply_kernelINS1_18TensorListMetadataILi1EEENS1_27BinaryOpScalarTensorFunctorIhLi1ELi1ELi0EEEJSt7dividesIhEPhhEEEvT_T0_DpT1_, .Lfunc_end48-_ZN2at6native12_GLOBAL__N_125multi_tensor_apply_kernelINS1_18TensorListMetadataILi1EEENS1_27BinaryOpScalarTensorFunctorIhLi1ELi1ELi0EEEJSt7dividesIhEPhhEEEvT_T0_DpT1_
                                        ; -- End function
	.set _ZN2at6native12_GLOBAL__N_125multi_tensor_apply_kernelINS1_18TensorListMetadataILi1EEENS1_27BinaryOpScalarTensorFunctorIhLi1ELi1ELi0EEEJSt7dividesIhEPhhEEEvT_T0_DpT1_.num_vgpr, 24
	.set _ZN2at6native12_GLOBAL__N_125multi_tensor_apply_kernelINS1_18TensorListMetadataILi1EEENS1_27BinaryOpScalarTensorFunctorIhLi1ELi1ELi0EEEJSt7dividesIhEPhhEEEvT_T0_DpT1_.num_agpr, 0
	.set _ZN2at6native12_GLOBAL__N_125multi_tensor_apply_kernelINS1_18TensorListMetadataILi1EEENS1_27BinaryOpScalarTensorFunctorIhLi1ELi1ELi0EEEJSt7dividesIhEPhhEEEvT_T0_DpT1_.numbered_sgpr, 24
	.set _ZN2at6native12_GLOBAL__N_125multi_tensor_apply_kernelINS1_18TensorListMetadataILi1EEENS1_27BinaryOpScalarTensorFunctorIhLi1ELi1ELi0EEEJSt7dividesIhEPhhEEEvT_T0_DpT1_.num_named_barrier, 0
	.set _ZN2at6native12_GLOBAL__N_125multi_tensor_apply_kernelINS1_18TensorListMetadataILi1EEENS1_27BinaryOpScalarTensorFunctorIhLi1ELi1ELi0EEEJSt7dividesIhEPhhEEEvT_T0_DpT1_.private_seg_size, 0
	.set _ZN2at6native12_GLOBAL__N_125multi_tensor_apply_kernelINS1_18TensorListMetadataILi1EEENS1_27BinaryOpScalarTensorFunctorIhLi1ELi1ELi0EEEJSt7dividesIhEPhhEEEvT_T0_DpT1_.uses_vcc, 1
	.set _ZN2at6native12_GLOBAL__N_125multi_tensor_apply_kernelINS1_18TensorListMetadataILi1EEENS1_27BinaryOpScalarTensorFunctorIhLi1ELi1ELi0EEEJSt7dividesIhEPhhEEEvT_T0_DpT1_.uses_flat_scratch, 0
	.set _ZN2at6native12_GLOBAL__N_125multi_tensor_apply_kernelINS1_18TensorListMetadataILi1EEENS1_27BinaryOpScalarTensorFunctorIhLi1ELi1ELi0EEEJSt7dividesIhEPhhEEEvT_T0_DpT1_.has_dyn_sized_stack, 0
	.set _ZN2at6native12_GLOBAL__N_125multi_tensor_apply_kernelINS1_18TensorListMetadataILi1EEENS1_27BinaryOpScalarTensorFunctorIhLi1ELi1ELi0EEEJSt7dividesIhEPhhEEEvT_T0_DpT1_.has_recursion, 0
	.set _ZN2at6native12_GLOBAL__N_125multi_tensor_apply_kernelINS1_18TensorListMetadataILi1EEENS1_27BinaryOpScalarTensorFunctorIhLi1ELi1ELi0EEEJSt7dividesIhEPhhEEEvT_T0_DpT1_.has_indirect_call, 0
	.section	.AMDGPU.csdata,"",@progbits
; Kernel info:
; codeLenInByte = 1968
; TotalNumSgprs: 26
; NumVgprs: 24
; ScratchSize: 0
; MemoryBound: 0
; FloatMode: 240
; IeeeMode: 1
; LDSByteSize: 0 bytes/workgroup (compile time only)
; SGPRBlocks: 0
; VGPRBlocks: 2
; NumSGPRsForWavesPerEU: 26
; NumVGPRsForWavesPerEU: 24
; Occupancy: 16
; WaveLimiterHint : 0
; COMPUTE_PGM_RSRC2:SCRATCH_EN: 0
; COMPUTE_PGM_RSRC2:USER_SGPR: 2
; COMPUTE_PGM_RSRC2:TRAP_HANDLER: 0
; COMPUTE_PGM_RSRC2:TGID_X_EN: 1
; COMPUTE_PGM_RSRC2:TGID_Y_EN: 0
; COMPUTE_PGM_RSRC2:TGID_Z_EN: 0
; COMPUTE_PGM_RSRC2:TIDIG_COMP_CNT: 0
	.section	.text._ZN2at6native12_GLOBAL__N_125multi_tensor_apply_kernelINS1_18TensorListMetadataILi1EEENS1_27BinaryOpScalarTensorFunctorIaLi1ELi1ELi0EEEJSt7dividesIaEPaaEEEvT_T0_DpT1_,"axG",@progbits,_ZN2at6native12_GLOBAL__N_125multi_tensor_apply_kernelINS1_18TensorListMetadataILi1EEENS1_27BinaryOpScalarTensorFunctorIaLi1ELi1ELi0EEEJSt7dividesIaEPaaEEEvT_T0_DpT1_,comdat
	.globl	_ZN2at6native12_GLOBAL__N_125multi_tensor_apply_kernelINS1_18TensorListMetadataILi1EEENS1_27BinaryOpScalarTensorFunctorIaLi1ELi1ELi0EEEJSt7dividesIaEPaaEEEvT_T0_DpT1_ ; -- Begin function _ZN2at6native12_GLOBAL__N_125multi_tensor_apply_kernelINS1_18TensorListMetadataILi1EEENS1_27BinaryOpScalarTensorFunctorIaLi1ELi1ELi0EEEJSt7dividesIaEPaaEEEvT_T0_DpT1_
	.p2align	8
	.type	_ZN2at6native12_GLOBAL__N_125multi_tensor_apply_kernelINS1_18TensorListMetadataILi1EEENS1_27BinaryOpScalarTensorFunctorIaLi1ELi1ELi0EEEJSt7dividesIaEPaaEEEvT_T0_DpT1_,@function
_ZN2at6native12_GLOBAL__N_125multi_tensor_apply_kernelINS1_18TensorListMetadataILi1EEENS1_27BinaryOpScalarTensorFunctorIaLi1ELi1ELi0EEEJSt7dividesIaEPaaEEEvT_T0_DpT1_: ; @_ZN2at6native12_GLOBAL__N_125multi_tensor_apply_kernelINS1_18TensorListMetadataILi1EEENS1_27BinaryOpScalarTensorFunctorIaLi1ELi1ELi0EEEJSt7dividesIaEPaaEEEvT_T0_DpT1_
; %bb.0:
	s_mov_b32 s2, ttmp9
	s_mov_b32 s3, 0
	s_delay_alu instid0(SALU_CYCLE_1) | instskip(SKIP_1) | instid1(SALU_CYCLE_1)
	s_mul_u64 s[4:5], s[2:3], 3
	s_add_nc_u64 s[2:3], s[0:1], s[2:3]
	s_add_nc_u64 s[2:3], s[2:3], s[4:5]
	s_clause 0x1
	s_load_b32 s2, s[2:3], 0x820
	s_load_u8 s3, s[0:1], ttmp9 offset:0x6e0
	s_wait_kmcnt 0x0
	s_lshl_b32 s3, s3, 3
	s_clause 0x2
	s_load_b64 s[4:5], s[0:1], s3 offset:0x370
	s_load_b64 s[6:7], s[0:1], s3 offset:0x0
	s_load_b96 s[8:10], s[0:1], 0xd30
	s_ashr_i32 s3, s2, 31
	s_delay_alu instid0(SALU_CYCLE_1) | instskip(SKIP_3) | instid1(SALU_CYCLE_1)
	s_lshl_b64 s[12:13], s[2:3], 16
	s_wait_kmcnt 0x0
	s_sub_nc_u64 s[14:15], s[4:5], s[12:13]
	s_or_b32 s11, s4, s6
	s_and_b32 s11, s11, 3
	s_delay_alu instid0(SALU_CYCLE_1)
	s_cmp_eq_u32 s11, 0
	s_cbranch_scc1 .LBB49_21
; %bb.1:
	v_cmp_lt_i64_e64 s2, s[14:15], 1
	s_and_b32 vcc_lo, exec_lo, s2
	s_cbranch_vccnz .LBB49_20
; %bb.2:
	s_load_b32 s2, s[0:1], 0xd4c
	v_cmp_gt_i64_e64 s4, 0x10000, s[14:15]
	s_mov_b32 s21, 0
	v_cmp_gt_u64_e64 s11, 0x10000, s[14:15]
	s_mov_b32 s5, s21
	v_add_co_u32 v12, s3, s12, v0
	s_and_b32 s4, s4, exec_lo
	s_cselect_b32 s17, s15, 0
	s_cselect_b32 s16, s14, 0x10000
	v_add_co_ci_u32_e64 v13, null, s13, 0, s3
	s_mov_b32 s3, s21
	v_add_co_u32 v2, vcc_lo, s6, v12
	s_delay_alu instid0(VALU_DEP_1)
	v_add_co_ci_u32_e64 v3, null, s7, v13, vcc_lo
	v_dual_mov_b32 v1, 0 :: v_dual_mov_b32 v16, 0
	s_wait_kmcnt 0x0
	s_and_b32 s20, s2, 0xffff
	s_and_b32 s2, s11, exec_lo
	s_mul_i32 s4, s20, 3
	s_cselect_b32 s19, s15, 0
	s_add_nc_u64 s[22:23], s[12:13], s[4:5]
	s_cselect_b32 s18, s14, 0x10000
	s_add_nc_u64 s[22:23], s[6:7], s[22:23]
	s_lshl_b32 s2, s20, 1
	v_add_co_u32 v4, s5, s22, v0
	s_delay_alu instid0(VALU_DEP_1)
	v_add_co_ci_u32_e64 v5, null, s23, 0, s5
	s_wait_alu 0xfffe
	s_add_nc_u64 s[22:23], s[12:13], s[2:3]
	v_add_co_u32 v6, s3, s4, v0
	s_wait_alu 0xfffe
	s_add_nc_u64 s[4:5], s[6:7], s[22:23]
	v_add_co_ci_u32_e64 v7, null, 0, 0, s3
	s_wait_alu 0xfffe
	v_add_co_u32 v8, s3, s4, v0
	v_add_co_u32 v10, s2, s2, v0
	s_wait_alu 0xf1ff
	v_add_co_ci_u32_e64 v9, null, s5, 0, s3
	v_add_co_ci_u32_e64 v11, null, 0, 0, s2
	s_add_nc_u64 s[2:3], s[6:7], s[20:21]
	s_mov_b64 s[22:23], 0
	s_wait_alu 0xfffe
	v_add_co_u32 v12, vcc_lo, s2, v12
	v_add_co_u32 v14, s2, v0, s20
	s_wait_alu 0xfffd
	v_add_co_ci_u32_e64 v13, null, s3, v13, vcc_lo
	s_wait_alu 0xf1ff
	v_add_co_ci_u32_e64 v15, null, 0, 0, s2
	s_lshl_b32 s20, s20, 2
	s_branch .LBB49_4
.LBB49_3:                               ;   in Loop: Header=BB49_4 Depth=1
	s_wait_alu 0xfffe
	s_or_b32 exec_lo, exec_lo, s2
	v_perm_b32 v17, v17, v19, 0xc0c0004
	s_add_nc_u64 s[22:23], s[22:23], s[20:21]
	v_perm_b32 v16, v20, v16, 0xc0c0004
	s_wait_alu 0xfffe
	v_cmp_lt_i64_e64 s2, s[22:23], s[16:17]
	s_delay_alu instid0(VALU_DEP_2)
	v_lshl_or_b32 v16, v16, 16, v17
	s_and_b32 vcc_lo, exec_lo, s2
	s_wait_alu 0xfffe
	s_cbranch_vccz .LBB49_20
.LBB49_4:                               ; =>This Inner Loop Header: Depth=1
	v_add_co_u32 v17, s2, v0, s22
	s_wait_alu 0xf1ff
	v_add_co_ci_u32_e64 v18, null, 0, s23, s2
	v_and_b32_e32 v16, 0xffffff00, v16
	s_delay_alu instid0(VALU_DEP_2)
	v_cmp_gt_u64_e64 s4, s[18:19], v[17:18]
	s_and_saveexec_b32 s2, s4
	s_cbranch_execz .LBB49_6
; %bb.5:                                ;   in Loop: Header=BB49_4 Depth=1
	v_add_co_u32 v17, vcc_lo, v2, s22
	s_wait_alu 0xfffd
	v_add_co_ci_u32_e64 v18, null, s23, v3, vcc_lo
	global_load_u8 v17, v[17:18], off
	s_wait_loadcnt 0x0
	v_perm_b32 v16, v17, v16, 0x3020104
.LBB49_6:                               ;   in Loop: Header=BB49_4 Depth=1
	s_wait_alu 0xfffe
	s_or_b32 exec_lo, exec_lo, s2
	v_add_co_u32 v17, vcc_lo, v14, s22
	s_wait_alu 0xfffd
	v_add_co_ci_u32_e64 v18, null, s23, v15, vcc_lo
	v_and_b32_e32 v16, 0xffff00ff, v16
	s_delay_alu instid0(VALU_DEP_2)
	v_cmp_gt_u64_e64 s3, s[18:19], v[17:18]
	s_and_saveexec_b32 s2, s3
	s_cbranch_execz .LBB49_8
; %bb.7:                                ;   in Loop: Header=BB49_4 Depth=1
	v_add_co_u32 v17, vcc_lo, v12, s22
	s_wait_alu 0xfffd
	v_add_co_ci_u32_e64 v18, null, s23, v13, vcc_lo
	global_load_u8 v17, v[17:18], off
	s_wait_loadcnt 0x0
	v_perm_b32 v16, v16, v17, 0x7060004
.LBB49_8:                               ;   in Loop: Header=BB49_4 Depth=1
	s_wait_alu 0xfffe
	s_or_b32 exec_lo, exec_lo, s2
	v_add_co_u32 v17, vcc_lo, v10, s22
	s_wait_alu 0xfffd
	v_add_co_ci_u32_e64 v18, null, s23, v11, vcc_lo
	v_and_b32_e32 v16, 0xff00ffff, v16
	s_delay_alu instid0(VALU_DEP_2)
	v_cmp_gt_u64_e64 s2, s[18:19], v[17:18]
	s_and_saveexec_b32 s5, s2
	s_cbranch_execz .LBB49_10
; %bb.9:                                ;   in Loop: Header=BB49_4 Depth=1
	v_add_co_u32 v17, vcc_lo, v8, s22
	s_wait_alu 0xfffd
	v_add_co_ci_u32_e64 v18, null, s23, v9, vcc_lo
	global_load_u8 v17, v[17:18], off
	s_wait_loadcnt 0x0
	v_perm_b32 v16, v16, v17, 0x7000504
.LBB49_10:                              ;   in Loop: Header=BB49_4 Depth=1
	s_wait_alu 0xfffe
	s_or_b32 exec_lo, exec_lo, s5
	v_add_co_u32 v17, vcc_lo, v6, s22
	s_wait_alu 0xfffd
	v_add_co_ci_u32_e64 v18, null, s23, v7, vcc_lo
	v_and_b32_e32 v16, 0xffffff, v16
	s_delay_alu instid0(VALU_DEP_2)
	v_cmp_gt_u64_e32 vcc_lo, s[18:19], v[17:18]
	s_and_saveexec_b32 s11, vcc_lo
	s_cbranch_execz .LBB49_12
; %bb.11:                               ;   in Loop: Header=BB49_4 Depth=1
	v_add_co_u32 v17, s5, v4, s22
	s_wait_alu 0xf1ff
	v_add_co_ci_u32_e64 v18, null, s23, v5, s5
	global_load_u8 v17, v[17:18], off
	v_lshrrev_b32_e32 v18, 16, v16
	s_wait_loadcnt 0x0
	v_lshlrev_b16 v17, 8, v17
	s_delay_alu instid0(VALU_DEP_1) | instskip(NEXT) | instid1(VALU_DEP_1)
	v_or_b32_e32 v17, v18, v17
	v_lshlrev_b32_e32 v17, 16, v17
	s_delay_alu instid0(VALU_DEP_1)
	v_and_or_b32 v16, 0xffff, v16, v17
.LBB49_12:                              ;   in Loop: Header=BB49_4 Depth=1
	s_wait_alu 0xfffe
	s_or_b32 exec_lo, exec_lo, s11
	global_load_u8 v17, v1, s[8:9]
	s_wait_loadcnt 0x0
	v_readfirstlane_b32 s5, v17
	v_bfe_i32 v17, v16, 0, 8
	s_mul_i32 s5, s5, s10
	s_delay_alu instid0(VALU_DEP_1)
	v_cvt_f32_i32_e32 v19, v17
	s_wait_alu 0xfffe
	s_sext_i32_i8 s11, s5
	s_wait_alu 0xfffe
	s_cvt_f32_i32 s24, s11
	v_xor_b32_e32 v17, s11, v17
	s_wait_alu 0xfffe
	s_delay_alu instid0(SALU_CYCLE_1) | instskip(NEXT) | instid1(VALU_DEP_1)
	v_rcp_iflag_f32_e32 v18, s24
	v_ashrrev_i32_e32 v17, 30, v17
	s_delay_alu instid0(VALU_DEP_1) | instskip(NEXT) | instid1(TRANS32_DEP_1)
	v_or_b32_e32 v17, 1, v17
	v_mul_f32_e32 v20, v19, v18
	s_delay_alu instid0(VALU_DEP_1) | instskip(NEXT) | instid1(VALU_DEP_1)
	v_trunc_f32_e32 v20, v20
	v_fma_f32 v19, -v20, s24, v19
	v_cvt_i32_f32_e32 v20, v20
	s_delay_alu instid0(VALU_DEP_2) | instskip(SKIP_1) | instid1(VALU_DEP_1)
	v_cmp_ge_f32_e64 s5, |v19|, |s24|
	s_wait_alu 0xf1ff
	v_cndmask_b32_e64 v17, 0, v17, s5
	s_delay_alu instid0(VALU_DEP_1) | instskip(NEXT) | instid1(VALU_DEP_1)
	v_add_nc_u32_e32 v17, v20, v17
	v_bfe_i32 v17, v17, 0, 8
	s_and_saveexec_b32 s5, s4
	s_cbranch_execz .LBB49_14
; %bb.13:                               ;   in Loop: Header=BB49_4 Depth=1
	v_add_co_u32 v19, s4, v2, s22
	s_wait_alu 0xf1ff
	v_add_co_ci_u32_e64 v20, null, s23, v3, s4
	global_store_b8 v[19:20], v17, off
.LBB49_14:                              ;   in Loop: Header=BB49_4 Depth=1
	s_wait_alu 0xfffe
	s_or_b32 exec_lo, exec_lo, s5
	v_bfe_i32 v19, v16, 8, 8
	s_and_b32 s5, s24, 0x7fffffff
	s_delay_alu instid0(VALU_DEP_1) | instskip(SKIP_1) | instid1(VALU_DEP_2)
	v_cvt_f32_i32_e32 v20, v19
	v_xor_b32_e32 v19, s11, v19
	v_mul_f32_e32 v21, v20, v18
	s_delay_alu instid0(VALU_DEP_2) | instskip(NEXT) | instid1(VALU_DEP_2)
	v_ashrrev_i32_e32 v19, 30, v19
	v_trunc_f32_e32 v21, v21
	s_delay_alu instid0(VALU_DEP_2) | instskip(NEXT) | instid1(VALU_DEP_2)
	v_or_b32_e32 v19, 1, v19
	v_fma_f32 v20, -v21, s24, v20
	v_cvt_i32_f32_e32 v21, v21
	s_wait_alu 0xfffe
	s_delay_alu instid0(VALU_DEP_2) | instskip(SKIP_1) | instid1(VALU_DEP_1)
	v_cmp_ge_f32_e64 s4, |v20|, s5
	s_wait_alu 0xf1ff
	v_cndmask_b32_e64 v19, 0, v19, s4
	s_delay_alu instid0(VALU_DEP_1) | instskip(NEXT) | instid1(VALU_DEP_1)
	v_add_nc_u32_e32 v19, v21, v19
	v_bfe_i32 v19, v19, 0, 8
	s_and_saveexec_b32 s4, s3
	s_cbranch_execz .LBB49_16
; %bb.15:                               ;   in Loop: Header=BB49_4 Depth=1
	v_add_co_u32 v20, s3, v12, s22
	s_wait_alu 0xf1ff
	v_add_co_ci_u32_e64 v21, null, s23, v13, s3
	global_store_b8 v[20:21], v19, off
.LBB49_16:                              ;   in Loop: Header=BB49_4 Depth=1
	s_wait_alu 0xfffe
	s_or_b32 exec_lo, exec_lo, s4
	v_bfe_i32 v20, v16, 16, 8
	s_delay_alu instid0(VALU_DEP_1) | instskip(SKIP_1) | instid1(VALU_DEP_2)
	v_cvt_f32_i32_e32 v21, v20
	v_xor_b32_e32 v20, s11, v20
	v_mul_f32_e32 v22, v21, v18
	s_delay_alu instid0(VALU_DEP_2) | instskip(NEXT) | instid1(VALU_DEP_2)
	v_ashrrev_i32_e32 v20, 30, v20
	v_trunc_f32_e32 v22, v22
	s_delay_alu instid0(VALU_DEP_2) | instskip(NEXT) | instid1(VALU_DEP_2)
	v_or_b32_e32 v20, 1, v20
	v_fma_f32 v21, -v22, s24, v21
	v_cvt_i32_f32_e32 v22, v22
	s_delay_alu instid0(VALU_DEP_2) | instskip(SKIP_1) | instid1(VALU_DEP_1)
	v_cmp_ge_f32_e64 s3, |v21|, s5
	s_wait_alu 0xf1ff
	v_cndmask_b32_e64 v20, 0, v20, s3
	s_delay_alu instid0(VALU_DEP_1) | instskip(NEXT) | instid1(VALU_DEP_1)
	v_add_nc_u32_e32 v20, v22, v20
	v_bfe_i32 v20, v20, 0, 8
	s_and_saveexec_b32 s3, s2
	s_cbranch_execz .LBB49_18
; %bb.17:                               ;   in Loop: Header=BB49_4 Depth=1
	v_add_co_u32 v21, s2, v8, s22
	s_wait_alu 0xf1ff
	v_add_co_ci_u32_e64 v22, null, s23, v9, s2
	global_store_b8 v[21:22], v20, off
.LBB49_18:                              ;   in Loop: Header=BB49_4 Depth=1
	s_wait_alu 0xfffe
	s_or_b32 exec_lo, exec_lo, s3
	v_ashrrev_i32_e32 v16, 24, v16
	s_delay_alu instid0(VALU_DEP_1) | instskip(SKIP_1) | instid1(VALU_DEP_2)
	v_cvt_f32_i32_e32 v21, v16
	v_xor_b32_e32 v16, s11, v16
	v_mul_f32_e32 v18, v21, v18
	s_delay_alu instid0(VALU_DEP_2) | instskip(NEXT) | instid1(VALU_DEP_2)
	v_ashrrev_i32_e32 v16, 30, v16
	v_trunc_f32_e32 v18, v18
	s_delay_alu instid0(VALU_DEP_2) | instskip(NEXT) | instid1(VALU_DEP_2)
	v_or_b32_e32 v16, 1, v16
	v_fma_f32 v21, -v18, s24, v21
	v_cvt_i32_f32_e32 v18, v18
	s_delay_alu instid0(VALU_DEP_2) | instskip(SKIP_1) | instid1(VALU_DEP_1)
	v_cmp_ge_f32_e64 s2, |v21|, s5
	s_wait_alu 0xf1ff
	v_cndmask_b32_e64 v16, 0, v16, s2
	s_delay_alu instid0(VALU_DEP_1) | instskip(NEXT) | instid1(VALU_DEP_1)
	v_add_nc_u32_e32 v16, v18, v16
	v_bfe_i32 v16, v16, 0, 8
	s_and_saveexec_b32 s2, vcc_lo
	s_cbranch_execz .LBB49_3
; %bb.19:                               ;   in Loop: Header=BB49_4 Depth=1
	v_add_co_u32 v21, vcc_lo, v4, s22
	s_wait_alu 0xfffd
	v_add_co_ci_u32_e64 v22, null, s23, v5, vcc_lo
	global_store_b8 v[21:22], v16, off
	s_branch .LBB49_3
.LBB49_20:
	s_cbranch_execz .LBB49_22
	s_branch .LBB49_25
.LBB49_21:
.LBB49_22:
	v_cmp_gt_i64_e64 s2, 0x10000, s[14:15]
	v_dual_mov_b32 v2, 0 :: v_dual_lshlrev_b32 v1, 2, v0
	s_mov_b32 s4, 0
	s_mov_b32 s5, exec_lo
	s_and_b32 s2, s2, exec_lo
	s_cselect_b32 s3, s15, 0
	s_cselect_b32 s2, s14, 0x10000
	s_wait_alu 0xfffe
	v_cmpx_gt_i64_e64 s[2:3], v[1:2]
	s_cbranch_execz .LBB49_25
; %bb.23:
	s_load_b32 s5, s[0:1], 0xd4c
	s_add_nc_u64 s[0:1], s[6:7], s[12:13]
	s_delay_alu instid0(SALU_CYCLE_1) | instskip(SKIP_3) | instid1(VALU_DEP_3)
	v_add_co_u32 v3, s0, s0, v1
	s_wait_alu 0xf1ff
	v_add_co_ci_u32_e64 v4, null, s1, 0, s0
	v_mov_b32_e32 v1, v2
	v_add_co_u32 v3, vcc_lo, v3, 2
	s_wait_alu 0xfffd
	s_delay_alu instid0(VALU_DEP_3)
	v_add_co_ci_u32_e64 v4, null, 0, v4, vcc_lo
	s_wait_kmcnt 0x0
	s_and_b32 s1, s5, 0xffff
	s_wait_alu 0xfffe
	s_lshl_b32 s5, s1, 2
.LBB49_24:                              ; =>This Inner Loop Header: Depth=1
	global_load_u8 v7, v2, s[8:9]
	global_load_b32 v8, v[3:4], off offset:-2
	v_add_co_u32 v0, vcc_lo, v0, s1
	s_wait_alu 0xfffd
	v_add_co_ci_u32_e64 v1, null, 0, v1, vcc_lo
	s_delay_alu instid0(VALU_DEP_1) | instskip(NEXT) | instid1(VALU_DEP_1)
	v_lshlrev_b64_e32 v[5:6], 2, v[0:1]
	v_cmp_le_i64_e32 vcc_lo, s[2:3], v[5:6]
	s_or_b32 s4, vcc_lo, s4
	s_wait_loadcnt 0x1
	v_mul_lo_u32 v5, v7, s10
	s_wait_loadcnt 0x0
	v_bfe_i32 v6, v8, 0, 8
	v_bfe_i32 v7, v8, 8, 8
	;; [unrolled: 1-line block ×3, first 2 shown]
	v_ashrrev_i32_e32 v8, 24, v8
	s_delay_alu instid0(VALU_DEP_4) | instskip(NEXT) | instid1(VALU_DEP_4)
	v_cvt_f32_i32_e32 v10, v6
	v_cvt_f32_i32_e32 v11, v7
	v_bfe_i32 v5, v5, 0, 8
	v_cvt_f32_i32_e32 v12, v9
	v_cvt_f32_i32_e32 v13, v8
	s_delay_alu instid0(VALU_DEP_3)
	v_cvt_f32_i32_e32 v14, v5
	v_xor_b32_e32 v6, v6, v5
	v_xor_b32_e32 v7, v7, v5
	;; [unrolled: 1-line block ×4, first 2 shown]
	v_rcp_iflag_f32_e32 v8, v14
	v_ashrrev_i32_e32 v6, 30, v6
	v_ashrrev_i32_e32 v7, 30, v7
	;; [unrolled: 1-line block ×4, first 2 shown]
	s_delay_alu instid0(VALU_DEP_4) | instskip(NEXT) | instid1(VALU_DEP_4)
	v_or_b32_e32 v6, 1, v6
	v_or_b32_e32 v7, 1, v7
	s_delay_alu instid0(VALU_DEP_4) | instskip(NEXT) | instid1(VALU_DEP_4)
	v_or_b32_e32 v9, 1, v9
	v_or_b32_e32 v5, 1, v5
	s_delay_alu instid0(TRANS32_DEP_1) | instskip(NEXT) | instid1(VALU_DEP_1)
	v_mul_f32_e32 v15, v10, v8
	v_trunc_f32_e32 v15, v15
	s_delay_alu instid0(VALU_DEP_1) | instskip(SKIP_1) | instid1(VALU_DEP_2)
	v_fma_f32 v10, -v15, v14, v10
	v_cvt_i32_f32_e32 v15, v15
	v_cmp_ge_f32_e64 s0, |v10|, |v14|
	s_wait_alu 0xf1ff
	s_delay_alu instid0(VALU_DEP_1) | instskip(NEXT) | instid1(VALU_DEP_1)
	v_cndmask_b32_e64 v6, 0, v6, s0
	v_dual_mul_f32 v17, v12, v8 :: v_dual_add_nc_u32 v6, v15, v6
	s_delay_alu instid0(VALU_DEP_1) | instskip(NEXT) | instid1(VALU_DEP_1)
	v_trunc_f32_e32 v17, v17
	v_fma_f32 v12, -v17, v14, v12
	v_cvt_i32_f32_e32 v17, v17
	v_mul_f32_e32 v16, v11, v8
	s_delay_alu instid0(VALU_DEP_1) | instskip(NEXT) | instid1(VALU_DEP_1)
	v_trunc_f32_e32 v16, v16
	v_fma_f32 v11, -v16, v14, v11
	v_cvt_i32_f32_e32 v16, v16
	s_delay_alu instid0(VALU_DEP_2) | instskip(SKIP_1) | instid1(VALU_DEP_1)
	v_cmp_ge_f32_e64 s0, |v11|, |v14|
	s_wait_alu 0xf1ff
	v_cndmask_b32_e64 v7, 0, v7, s0
	v_mul_f32_e32 v8, v13, v8
	v_cmp_ge_f32_e64 s0, |v12|, |v14|
	s_delay_alu instid0(VALU_DEP_3) | instskip(NEXT) | instid1(VALU_DEP_3)
	v_add_nc_u32_e32 v7, v16, v7
	v_trunc_f32_e32 v8, v8
	s_wait_alu 0xf1ff
	s_delay_alu instid0(VALU_DEP_3) | instskip(NEXT) | instid1(VALU_DEP_3)
	v_cndmask_b32_e64 v9, 0, v9, s0
	v_perm_b32 v7, v7, v6, 0x5040100
	s_delay_alu instid0(VALU_DEP_3) | instskip(SKIP_1) | instid1(VALU_DEP_4)
	v_fma_f32 v13, -v8, v14, v13
	v_cvt_i32_f32_e32 v8, v8
	v_add_nc_u32_e32 v9, v17, v9
	s_delay_alu instid0(VALU_DEP_4) | instskip(NEXT) | instid1(VALU_DEP_4)
	v_perm_b32 v6, v6, v7, 0xc0c0204
	v_cmp_ge_f32_e64 s0, |v13|, |v14|
	s_wait_alu 0xf1ff
	s_delay_alu instid0(VALU_DEP_1) | instskip(NEXT) | instid1(VALU_DEP_1)
	v_cndmask_b32_e64 v5, 0, v5, s0
	v_add_nc_u32_e32 v5, v8, v5
	s_delay_alu instid0(VALU_DEP_1) | instskip(NEXT) | instid1(VALU_DEP_1)
	v_perm_b32 v5, v5, v9, 0x5040100
	v_perm_b32 v5, v9, v5, 0xc0c0204
	s_delay_alu instid0(VALU_DEP_1)
	v_lshl_or_b32 v5, v5, 16, v6
	global_store_b32 v[3:4], v5, off offset:-2
	s_wait_alu 0xfffe
	v_add_co_u32 v3, s0, v3, s5
	s_wait_alu 0xf1ff
	v_add_co_ci_u32_e64 v4, null, 0, v4, s0
	s_and_not1_b32 exec_lo, exec_lo, s4
	s_cbranch_execnz .LBB49_24
.LBB49_25:
	s_endpgm
	.section	.rodata,"a",@progbits
	.p2align	6, 0x0
	.amdhsa_kernel _ZN2at6native12_GLOBAL__N_125multi_tensor_apply_kernelINS1_18TensorListMetadataILi1EEENS1_27BinaryOpScalarTensorFunctorIaLi1ELi1ELi0EEEJSt7dividesIaEPaaEEEvT_T0_DpT1_
		.amdhsa_group_segment_fixed_size 0
		.amdhsa_private_segment_fixed_size 0
		.amdhsa_kernarg_size 3648
		.amdhsa_user_sgpr_count 2
		.amdhsa_user_sgpr_dispatch_ptr 0
		.amdhsa_user_sgpr_queue_ptr 0
		.amdhsa_user_sgpr_kernarg_segment_ptr 1
		.amdhsa_user_sgpr_dispatch_id 0
		.amdhsa_user_sgpr_private_segment_size 0
		.amdhsa_wavefront_size32 1
		.amdhsa_uses_dynamic_stack 0
		.amdhsa_enable_private_segment 0
		.amdhsa_system_sgpr_workgroup_id_x 1
		.amdhsa_system_sgpr_workgroup_id_y 0
		.amdhsa_system_sgpr_workgroup_id_z 0
		.amdhsa_system_sgpr_workgroup_info 0
		.amdhsa_system_vgpr_workitem_id 0
		.amdhsa_next_free_vgpr 23
		.amdhsa_next_free_sgpr 25
		.amdhsa_reserve_vcc 1
		.amdhsa_float_round_mode_32 0
		.amdhsa_float_round_mode_16_64 0
		.amdhsa_float_denorm_mode_32 3
		.amdhsa_float_denorm_mode_16_64 3
		.amdhsa_fp16_overflow 0
		.amdhsa_workgroup_processor_mode 1
		.amdhsa_memory_ordered 1
		.amdhsa_forward_progress 1
		.amdhsa_inst_pref_size 18
		.amdhsa_round_robin_scheduling 0
		.amdhsa_exception_fp_ieee_invalid_op 0
		.amdhsa_exception_fp_denorm_src 0
		.amdhsa_exception_fp_ieee_div_zero 0
		.amdhsa_exception_fp_ieee_overflow 0
		.amdhsa_exception_fp_ieee_underflow 0
		.amdhsa_exception_fp_ieee_inexact 0
		.amdhsa_exception_int_div_zero 0
	.end_amdhsa_kernel
	.section	.text._ZN2at6native12_GLOBAL__N_125multi_tensor_apply_kernelINS1_18TensorListMetadataILi1EEENS1_27BinaryOpScalarTensorFunctorIaLi1ELi1ELi0EEEJSt7dividesIaEPaaEEEvT_T0_DpT1_,"axG",@progbits,_ZN2at6native12_GLOBAL__N_125multi_tensor_apply_kernelINS1_18TensorListMetadataILi1EEENS1_27BinaryOpScalarTensorFunctorIaLi1ELi1ELi0EEEJSt7dividesIaEPaaEEEvT_T0_DpT1_,comdat
.Lfunc_end49:
	.size	_ZN2at6native12_GLOBAL__N_125multi_tensor_apply_kernelINS1_18TensorListMetadataILi1EEENS1_27BinaryOpScalarTensorFunctorIaLi1ELi1ELi0EEEJSt7dividesIaEPaaEEEvT_T0_DpT1_, .Lfunc_end49-_ZN2at6native12_GLOBAL__N_125multi_tensor_apply_kernelINS1_18TensorListMetadataILi1EEENS1_27BinaryOpScalarTensorFunctorIaLi1ELi1ELi0EEEJSt7dividesIaEPaaEEEvT_T0_DpT1_
                                        ; -- End function
	.set _ZN2at6native12_GLOBAL__N_125multi_tensor_apply_kernelINS1_18TensorListMetadataILi1EEENS1_27BinaryOpScalarTensorFunctorIaLi1ELi1ELi0EEEJSt7dividesIaEPaaEEEvT_T0_DpT1_.num_vgpr, 23
	.set _ZN2at6native12_GLOBAL__N_125multi_tensor_apply_kernelINS1_18TensorListMetadataILi1EEENS1_27BinaryOpScalarTensorFunctorIaLi1ELi1ELi0EEEJSt7dividesIaEPaaEEEvT_T0_DpT1_.num_agpr, 0
	.set _ZN2at6native12_GLOBAL__N_125multi_tensor_apply_kernelINS1_18TensorListMetadataILi1EEENS1_27BinaryOpScalarTensorFunctorIaLi1ELi1ELi0EEEJSt7dividesIaEPaaEEEvT_T0_DpT1_.numbered_sgpr, 25
	.set _ZN2at6native12_GLOBAL__N_125multi_tensor_apply_kernelINS1_18TensorListMetadataILi1EEENS1_27BinaryOpScalarTensorFunctorIaLi1ELi1ELi0EEEJSt7dividesIaEPaaEEEvT_T0_DpT1_.num_named_barrier, 0
	.set _ZN2at6native12_GLOBAL__N_125multi_tensor_apply_kernelINS1_18TensorListMetadataILi1EEENS1_27BinaryOpScalarTensorFunctorIaLi1ELi1ELi0EEEJSt7dividesIaEPaaEEEvT_T0_DpT1_.private_seg_size, 0
	.set _ZN2at6native12_GLOBAL__N_125multi_tensor_apply_kernelINS1_18TensorListMetadataILi1EEENS1_27BinaryOpScalarTensorFunctorIaLi1ELi1ELi0EEEJSt7dividesIaEPaaEEEvT_T0_DpT1_.uses_vcc, 1
	.set _ZN2at6native12_GLOBAL__N_125multi_tensor_apply_kernelINS1_18TensorListMetadataILi1EEENS1_27BinaryOpScalarTensorFunctorIaLi1ELi1ELi0EEEJSt7dividesIaEPaaEEEvT_T0_DpT1_.uses_flat_scratch, 0
	.set _ZN2at6native12_GLOBAL__N_125multi_tensor_apply_kernelINS1_18TensorListMetadataILi1EEENS1_27BinaryOpScalarTensorFunctorIaLi1ELi1ELi0EEEJSt7dividesIaEPaaEEEvT_T0_DpT1_.has_dyn_sized_stack, 0
	.set _ZN2at6native12_GLOBAL__N_125multi_tensor_apply_kernelINS1_18TensorListMetadataILi1EEENS1_27BinaryOpScalarTensorFunctorIaLi1ELi1ELi0EEEJSt7dividesIaEPaaEEEvT_T0_DpT1_.has_recursion, 0
	.set _ZN2at6native12_GLOBAL__N_125multi_tensor_apply_kernelINS1_18TensorListMetadataILi1EEENS1_27BinaryOpScalarTensorFunctorIaLi1ELi1ELi0EEEJSt7dividesIaEPaaEEEvT_T0_DpT1_.has_indirect_call, 0
	.section	.AMDGPU.csdata,"",@progbits
; Kernel info:
; codeLenInByte = 2264
; TotalNumSgprs: 27
; NumVgprs: 23
; ScratchSize: 0
; MemoryBound: 0
; FloatMode: 240
; IeeeMode: 1
; LDSByteSize: 0 bytes/workgroup (compile time only)
; SGPRBlocks: 0
; VGPRBlocks: 2
; NumSGPRsForWavesPerEU: 27
; NumVGPRsForWavesPerEU: 23
; Occupancy: 16
; WaveLimiterHint : 0
; COMPUTE_PGM_RSRC2:SCRATCH_EN: 0
; COMPUTE_PGM_RSRC2:USER_SGPR: 2
; COMPUTE_PGM_RSRC2:TRAP_HANDLER: 0
; COMPUTE_PGM_RSRC2:TGID_X_EN: 1
; COMPUTE_PGM_RSRC2:TGID_Y_EN: 0
; COMPUTE_PGM_RSRC2:TGID_Z_EN: 0
; COMPUTE_PGM_RSRC2:TIDIG_COMP_CNT: 0
	.section	.text._ZN2at6native12_GLOBAL__N_125multi_tensor_apply_kernelINS1_18TensorListMetadataILi1EEENS1_27BinaryOpScalarTensorFunctorIiLi1ELi1ELi0EEEJSt7dividesIiEPiiEEEvT_T0_DpT1_,"axG",@progbits,_ZN2at6native12_GLOBAL__N_125multi_tensor_apply_kernelINS1_18TensorListMetadataILi1EEENS1_27BinaryOpScalarTensorFunctorIiLi1ELi1ELi0EEEJSt7dividesIiEPiiEEEvT_T0_DpT1_,comdat
	.globl	_ZN2at6native12_GLOBAL__N_125multi_tensor_apply_kernelINS1_18TensorListMetadataILi1EEENS1_27BinaryOpScalarTensorFunctorIiLi1ELi1ELi0EEEJSt7dividesIiEPiiEEEvT_T0_DpT1_ ; -- Begin function _ZN2at6native12_GLOBAL__N_125multi_tensor_apply_kernelINS1_18TensorListMetadataILi1EEENS1_27BinaryOpScalarTensorFunctorIiLi1ELi1ELi0EEEJSt7dividesIiEPiiEEEvT_T0_DpT1_
	.p2align	8
	.type	_ZN2at6native12_GLOBAL__N_125multi_tensor_apply_kernelINS1_18TensorListMetadataILi1EEENS1_27BinaryOpScalarTensorFunctorIiLi1ELi1ELi0EEEJSt7dividesIiEPiiEEEvT_T0_DpT1_,@function
_ZN2at6native12_GLOBAL__N_125multi_tensor_apply_kernelINS1_18TensorListMetadataILi1EEENS1_27BinaryOpScalarTensorFunctorIiLi1ELi1ELi0EEEJSt7dividesIiEPiiEEEvT_T0_DpT1_: ; @_ZN2at6native12_GLOBAL__N_125multi_tensor_apply_kernelINS1_18TensorListMetadataILi1EEENS1_27BinaryOpScalarTensorFunctorIiLi1ELi1ELi0EEEJSt7dividesIiEPiiEEEvT_T0_DpT1_
; %bb.0:
	s_mov_b32 s2, ttmp9
	s_mov_b32 s3, 0
	s_delay_alu instid0(SALU_CYCLE_1)
	s_mul_u64 s[4:5], s[2:3], 3
	s_add_nc_u64 s[6:7], s[0:1], s[2:3]
	s_mov_b32 s17, s3
	s_add_nc_u64 s[4:5], s[6:7], s[4:5]
	s_clause 0x1
	s_load_b32 s4, s[4:5], 0x820
	s_load_u8 s2, s[0:1], ttmp9 offset:0x6e0
	s_wait_kmcnt 0x0
	s_ashr_i32 s5, s4, 31
	s_lshl_b32 s2, s2, 3
	s_clause 0x2
	s_load_b64 s[6:7], s[0:1], s2 offset:0x0
	s_load_b64 s[14:15], s[0:1], s2 offset:0x370
	s_load_b96 s[8:10], s[0:1], 0xd30
	s_lshl_b64 s[12:13], s[4:5], 18
	s_lshl_b64 s[4:5], s[4:5], 16
	s_wait_kmcnt 0x0
	s_and_b32 s2, s6, 15
	s_and_b32 s16, s14, 3
	s_sub_nc_u64 s[14:15], s[14:15], s[4:5]
	s_or_b64 s[2:3], s[2:3], s[16:17]
	s_delay_alu instid0(SALU_CYCLE_1)
	s_cmp_eq_u64 s[2:3], 0
	s_cbranch_scc1 .LBB50_21
; %bb.1:
	v_cmp_lt_i64_e64 s2, s[14:15], 1
	s_and_b32 vcc_lo, exec_lo, s2
	s_cbranch_vccnz .LBB50_20
; %bb.2:
	s_load_b32 s2, s[0:1], 0xd4c
	v_cmp_gt_i64_e64 s11, 0x10000, s[14:15]
	v_lshlrev_b32_e32 v1, 2, v0
	s_add_nc_u64 s[4:5], s[6:7], s[12:13]
	s_mov_b32 s3, 0
	v_cmp_gt_u64_e64 s16, 0x10000, s[14:15]
	s_mov_b32 s17, s3
	v_add_co_u32 v1, s18, s4, v1
	s_and_b32 s11, s11, exec_lo
	v_add_co_ci_u32_e64 v2, null, s5, 0, s18
	s_cselect_b32 s19, s15, 0
	s_cselect_b32 s18, s14, 0x10000
	v_mov_b32_e32 v5, 0
	s_wait_kmcnt 0x0
	s_and_b32 s2, s2, 0xffff
	s_and_b32 s11, s16, exec_lo
	s_mul_u64 s[22:23], s[2:3], 12
	v_add_co_u32 v6, s3, v0, s2
	s_cselect_b32 s21, s15, 0
	s_cselect_b32 s20, s14, 0x10000
	s_lshl_b32 s11, s2, 1
	v_lshlrev_b32_e32 v3, 2, v6
	s_mul_i32 s24, s2, 3
	v_add_co_ci_u32_e64 v9, null, 0, 0, s3
	v_add_co_u32 v10, s3, s11, v0
	v_add_co_u32 v7, s24, s24, v0
	s_wait_alu 0xf1ff
	v_add_co_ci_u32_e64 v11, null, 0, 0, s3
	v_add_co_u32 v3, s3, s4, v3
	v_add_co_ci_u32_e64 v8, null, 0, 0, s24
	s_wait_alu 0xf1ff
	v_add_co_ci_u32_e64 v4, null, s5, 0, s3
	s_lshl_b32 s16, s2, 2
	s_lshl_b32 s11, s2, 4
	;; [unrolled: 1-line block ×3, first 2 shown]
	s_mov_b64 s[24:25], 0
	s_branch .LBB50_4
.LBB50_3:                               ;   in Loop: Header=BB50_4 Depth=1
	s_wait_alu 0xfffe
	s_or_b32 exec_lo, exec_lo, s2
	s_add_nc_u64 s[24:25], s[24:25], s[16:17]
	v_add_co_u32 v1, vcc_lo, v1, s11
	s_wait_alu 0xfffe
	v_cmp_lt_i64_e64 s2, s[24:25], s[18:19]
	s_wait_alu 0xfffd
	v_add_co_ci_u32_e64 v2, null, 0, v2, vcc_lo
	v_add_co_u32 v3, vcc_lo, v3, s11
	s_wait_alu 0xfffd
	v_add_co_ci_u32_e64 v4, null, 0, v4, vcc_lo
	s_and_b32 vcc_lo, exec_lo, s2
	s_wait_alu 0xfffe
	s_cbranch_vccz .LBB50_20
.LBB50_4:                               ; =>This Inner Loop Header: Depth=1
	s_wait_alu 0xfffe
	v_add_co_u32 v12, s2, v0, s24
	s_wait_alu 0xf1ff
	v_add_co_ci_u32_e64 v13, null, 0, s25, s2
	v_mov_b32_e32 v15, 0
	s_delay_alu instid0(VALU_DEP_2)
	v_cmp_gt_u64_e64 s4, s[20:21], v[12:13]
	s_and_saveexec_b32 s2, s4
	s_cbranch_execz .LBB50_6
; %bb.5:                                ;   in Loop: Header=BB50_4 Depth=1
	global_load_b32 v15, v[1:2], off
.LBB50_6:                               ;   in Loop: Header=BB50_4 Depth=1
	s_wait_alu 0xfffe
	s_or_b32 exec_lo, exec_lo, s2
	v_add_co_u32 v12, vcc_lo, v6, s24
	s_wait_alu 0xfffd
	v_add_co_ci_u32_e64 v13, null, s25, v9, vcc_lo
	v_mov_b32_e32 v14, 0
	s_delay_alu instid0(VALU_DEP_2)
	v_cmp_gt_u64_e64 s3, s[20:21], v[12:13]
	v_mov_b32_e32 v12, 0
	s_and_saveexec_b32 s2, s3
	s_cbranch_execz .LBB50_8
; %bb.7:                                ;   in Loop: Header=BB50_4 Depth=1
	global_load_b32 v14, v[3:4], off
.LBB50_8:                               ;   in Loop: Header=BB50_4 Depth=1
	s_wait_alu 0xfffe
	s_or_b32 exec_lo, exec_lo, s2
	v_add_co_u32 v16, vcc_lo, v10, s24
	s_wait_alu 0xfffd
	v_add_co_ci_u32_e64 v17, null, s25, v11, vcc_lo
	s_delay_alu instid0(VALU_DEP_1)
	v_cmp_gt_u64_e64 s2, s[20:21], v[16:17]
	s_and_saveexec_b32 s5, s2
	s_cbranch_execz .LBB50_10
; %bb.9:                                ;   in Loop: Header=BB50_4 Depth=1
	v_add_co_u32 v12, vcc_lo, v1, s26
	s_wait_alu 0xfffd
	v_add_co_ci_u32_e64 v13, null, 0, v2, vcc_lo
	global_load_b32 v12, v[12:13], off
.LBB50_10:                              ;   in Loop: Header=BB50_4 Depth=1
	s_wait_alu 0xfffe
	s_or_b32 exec_lo, exec_lo, s5
	v_add_co_u32 v16, vcc_lo, v7, s24
	s_wait_alu 0xfffd
	v_add_co_ci_u32_e64 v17, null, s25, v8, vcc_lo
	v_mov_b32_e32 v13, 0
	s_delay_alu instid0(VALU_DEP_2)
	v_cmp_gt_u64_e32 vcc_lo, s[20:21], v[16:17]
	s_and_saveexec_b32 s27, vcc_lo
	s_cbranch_execz .LBB50_12
; %bb.11:                               ;   in Loop: Header=BB50_4 Depth=1
	v_add_co_u32 v16, s5, v1, s22
	s_wait_alu 0xf1ff
	v_add_co_ci_u32_e64 v17, null, s23, v2, s5
	global_load_b32 v13, v[16:17], off
.LBB50_12:                              ;   in Loop: Header=BB50_4 Depth=1
	s_wait_alu 0xfffe
	s_or_b32 exec_lo, exec_lo, s27
	global_load_b32 v16, v5, s[8:9]
	s_wait_loadcnt 0x0
	v_readfirstlane_b32 s5, v16
	s_mul_i32 s27, s5, s10
	s_wait_alu 0xfffe
	s_abs_i32 s5, s27
	s_ashr_i32 s27, s27, 31
	s_wait_alu 0xfffe
	s_cvt_f32_u32 s28, s5
	s_sub_co_i32 s29, 0, s5
	s_wait_alu 0xfffe
	s_delay_alu instid0(SALU_CYCLE_1) | instskip(NEXT) | instid1(TRANS32_DEP_1)
	v_rcp_iflag_f32_e32 v16, s28
	v_readfirstlane_b32 s28, v16
	s_mul_f32 s28, s28, 0x4f7ffffe
	s_wait_alu 0xfffe
	s_delay_alu instid0(SALU_CYCLE_2) | instskip(SKIP_1) | instid1(SALU_CYCLE_2)
	s_cvt_u32_f32 s28, s28
	s_wait_alu 0xfffe
	s_mul_i32 s29, s29, s28
	s_wait_alu 0xfffe
	s_mul_hi_u32 s29, s28, s29
	s_wait_alu 0xfffe
	s_add_co_i32 s28, s28, s29
	s_and_saveexec_b32 s29, s4
	s_cbranch_execnz .LBB50_16
; %bb.13:                               ;   in Loop: Header=BB50_4 Depth=1
	s_wait_alu 0xfffe
	s_or_b32 exec_lo, exec_lo, s29
	s_and_saveexec_b32 s4, s3
	s_cbranch_execnz .LBB50_17
.LBB50_14:                              ;   in Loop: Header=BB50_4 Depth=1
	s_wait_alu 0xfffe
	s_or_b32 exec_lo, exec_lo, s4
	s_and_saveexec_b32 s3, s2
	s_cbranch_execnz .LBB50_18
.LBB50_15:                              ;   in Loop: Header=BB50_4 Depth=1
	s_wait_alu 0xfffe
	s_or_b32 exec_lo, exec_lo, s3
	s_and_saveexec_b32 s2, vcc_lo
	s_cbranch_execz .LBB50_3
	s_branch .LBB50_19
.LBB50_16:                              ;   in Loop: Header=BB50_4 Depth=1
	v_sub_nc_u32_e32 v16, 0, v15
	s_delay_alu instid0(VALU_DEP_1) | instskip(SKIP_2) | instid1(VALU_DEP_2)
	v_max_i32_e32 v16, v15, v16
	v_ashrrev_i32_e32 v15, 31, v15
	s_wait_alu 0xfffe
	v_mul_hi_u32 v17, v16, s28
	s_delay_alu instid0(VALU_DEP_2) | instskip(NEXT) | instid1(VALU_DEP_2)
	v_xor_b32_e32 v15, s27, v15
	v_mul_lo_u32 v18, v17, s5
	s_delay_alu instid0(VALU_DEP_1) | instskip(SKIP_1) | instid1(VALU_DEP_2)
	v_sub_nc_u32_e32 v16, v16, v18
	v_add_nc_u32_e32 v18, 1, v17
	v_subrev_nc_u32_e32 v19, s5, v16
	v_cmp_le_u32_e64 s4, s5, v16
	s_wait_alu 0xf1ff
	s_delay_alu instid0(VALU_DEP_1) | instskip(NEXT) | instid1(VALU_DEP_3)
	v_cndmask_b32_e64 v17, v17, v18, s4
	v_cndmask_b32_e64 v16, v16, v19, s4
	s_delay_alu instid0(VALU_DEP_2) | instskip(NEXT) | instid1(VALU_DEP_2)
	v_add_nc_u32_e32 v18, 1, v17
	v_cmp_le_u32_e64 s4, s5, v16
	s_wait_alu 0xf1ff
	s_delay_alu instid0(VALU_DEP_1) | instskip(NEXT) | instid1(VALU_DEP_1)
	v_cndmask_b32_e64 v16, v17, v18, s4
	v_xor_b32_e32 v16, v16, v15
	s_delay_alu instid0(VALU_DEP_1)
	v_sub_nc_u32_e32 v15, v16, v15
	global_store_b32 v[1:2], v15, off
	s_or_b32 exec_lo, exec_lo, s29
	s_and_saveexec_b32 s4, s3
	s_cbranch_execz .LBB50_14
.LBB50_17:                              ;   in Loop: Header=BB50_4 Depth=1
	v_sub_nc_u32_e32 v15, 0, v14
	s_delay_alu instid0(VALU_DEP_1) | instskip(SKIP_1) | instid1(VALU_DEP_2)
	v_max_i32_e32 v15, v14, v15
	v_ashrrev_i32_e32 v14, 31, v14
	v_mul_hi_u32 v16, v15, s28
	s_delay_alu instid0(VALU_DEP_2) | instskip(NEXT) | instid1(VALU_DEP_2)
	v_xor_b32_e32 v14, s27, v14
	v_mul_lo_u32 v17, v16, s5
	s_delay_alu instid0(VALU_DEP_1) | instskip(SKIP_1) | instid1(VALU_DEP_2)
	v_sub_nc_u32_e32 v15, v15, v17
	v_add_nc_u32_e32 v17, 1, v16
	v_subrev_nc_u32_e32 v18, s5, v15
	v_cmp_le_u32_e64 s3, s5, v15
	s_wait_alu 0xf1ff
	s_delay_alu instid0(VALU_DEP_1) | instskip(NEXT) | instid1(VALU_DEP_3)
	v_cndmask_b32_e64 v16, v16, v17, s3
	v_cndmask_b32_e64 v15, v15, v18, s3
	s_delay_alu instid0(VALU_DEP_2) | instskip(NEXT) | instid1(VALU_DEP_2)
	v_add_nc_u32_e32 v17, 1, v16
	v_cmp_le_u32_e64 s3, s5, v15
	s_wait_alu 0xf1ff
	s_delay_alu instid0(VALU_DEP_1) | instskip(NEXT) | instid1(VALU_DEP_1)
	v_cndmask_b32_e64 v15, v16, v17, s3
	v_xor_b32_e32 v15, v15, v14
	s_delay_alu instid0(VALU_DEP_1)
	v_sub_nc_u32_e32 v14, v15, v14
	global_store_b32 v[3:4], v14, off
	s_wait_alu 0xfffe
	s_or_b32 exec_lo, exec_lo, s4
	s_and_saveexec_b32 s3, s2
	s_cbranch_execz .LBB50_15
.LBB50_18:                              ;   in Loop: Header=BB50_4 Depth=1
	v_sub_nc_u32_e32 v14, 0, v12
	s_delay_alu instid0(VALU_DEP_1) | instskip(SKIP_1) | instid1(VALU_DEP_2)
	v_max_i32_e32 v14, v12, v14
	v_ashrrev_i32_e32 v12, 31, v12
	v_mul_hi_u32 v15, v14, s28
	s_delay_alu instid0(VALU_DEP_2) | instskip(NEXT) | instid1(VALU_DEP_2)
	v_xor_b32_e32 v12, s27, v12
	v_mul_lo_u32 v16, v15, s5
	s_delay_alu instid0(VALU_DEP_1) | instskip(SKIP_1) | instid1(VALU_DEP_2)
	v_sub_nc_u32_e32 v14, v14, v16
	v_add_nc_u32_e32 v16, 1, v15
	v_subrev_nc_u32_e32 v17, s5, v14
	v_cmp_le_u32_e64 s2, s5, v14
	s_wait_alu 0xf1ff
	s_delay_alu instid0(VALU_DEP_1) | instskip(NEXT) | instid1(VALU_DEP_3)
	v_cndmask_b32_e64 v15, v15, v16, s2
	v_cndmask_b32_e64 v14, v14, v17, s2
	s_delay_alu instid0(VALU_DEP_2) | instskip(NEXT) | instid1(VALU_DEP_2)
	v_add_nc_u32_e32 v16, 1, v15
	v_cmp_le_u32_e64 s2, s5, v14
	s_wait_alu 0xf1ff
	s_delay_alu instid0(VALU_DEP_1) | instskip(NEXT) | instid1(VALU_DEP_1)
	v_cndmask_b32_e64 v14, v15, v16, s2
	v_xor_b32_e32 v14, v14, v12
	s_delay_alu instid0(VALU_DEP_1)
	v_sub_nc_u32_e32 v12, v14, v12
	v_add_co_u32 v14, s2, v1, s26
	s_wait_alu 0xf1ff
	v_add_co_ci_u32_e64 v15, null, 0, v2, s2
	global_store_b32 v[14:15], v12, off
	s_wait_alu 0xfffe
	s_or_b32 exec_lo, exec_lo, s3
	s_and_saveexec_b32 s2, vcc_lo
	s_cbranch_execz .LBB50_3
.LBB50_19:                              ;   in Loop: Header=BB50_4 Depth=1
	v_sub_nc_u32_e32 v12, 0, v13
	s_delay_alu instid0(VALU_DEP_1) | instskip(SKIP_1) | instid1(VALU_DEP_2)
	v_max_i32_e32 v12, v13, v12
	v_ashrrev_i32_e32 v13, 31, v13
	v_mul_hi_u32 v14, v12, s28
	s_delay_alu instid0(VALU_DEP_2) | instskip(NEXT) | instid1(VALU_DEP_2)
	v_xor_b32_e32 v13, s27, v13
	v_mul_lo_u32 v15, v14, s5
	s_delay_alu instid0(VALU_DEP_1) | instskip(NEXT) | instid1(VALU_DEP_1)
	v_sub_nc_u32_e32 v12, v12, v15
	v_subrev_nc_u32_e32 v16, s5, v12
	v_cmp_le_u32_e32 vcc_lo, s5, v12
	s_wait_alu 0xfffd
	s_delay_alu instid0(VALU_DEP_2) | instskip(NEXT) | instid1(VALU_DEP_1)
	v_dual_cndmask_b32 v12, v12, v16 :: v_dual_add_nc_u32 v15, 1, v14
	v_cndmask_b32_e32 v14, v14, v15, vcc_lo
	s_delay_alu instid0(VALU_DEP_2) | instskip(NEXT) | instid1(VALU_DEP_2)
	v_cmp_le_u32_e32 vcc_lo, s5, v12
	v_add_nc_u32_e32 v15, 1, v14
	s_wait_alu 0xfffd
	s_delay_alu instid0(VALU_DEP_1) | instskip(NEXT) | instid1(VALU_DEP_1)
	v_cndmask_b32_e32 v12, v14, v15, vcc_lo
	v_xor_b32_e32 v12, v12, v13
	s_delay_alu instid0(VALU_DEP_1)
	v_sub_nc_u32_e32 v14, v12, v13
	v_add_co_u32 v12, vcc_lo, v1, s22
	s_wait_alu 0xfffd
	v_add_co_ci_u32_e64 v13, null, s23, v2, vcc_lo
	global_store_b32 v[12:13], v14, off
	s_branch .LBB50_3
.LBB50_20:
	s_cbranch_execz .LBB50_22
	s_branch .LBB50_25
.LBB50_21:
.LBB50_22:
	v_cmp_gt_i64_e64 s2, 0x10000, s[14:15]
	v_dual_mov_b32 v2, 0 :: v_dual_lshlrev_b32 v1, 2, v0
	s_mov_b32 s11, 0
	s_and_b32 s2, s2, exec_lo
	s_cselect_b32 s5, s15, 0
	s_cselect_b32 s4, s14, 0x10000
	s_mov_b32 s2, exec_lo
	s_wait_alu 0xfffe
	v_cmpx_gt_i64_e64 s[4:5], v[1:2]
	s_cbranch_execz .LBB50_25
; %bb.23:
	s_load_b32 s2, s[0:1], 0xd4c
	v_lshlrev_b32_e32 v1, 4, v0
	s_add_nc_u64 s[0:1], s[6:7], s[12:13]
	s_delay_alu instid0(VALU_DEP_1) | instid1(SALU_CYCLE_1)
	v_add_co_u32 v3, s0, s0, v1
	s_wait_alu 0xf1ff
	v_add_co_ci_u32_e64 v4, null, s1, 0, s0
	v_mov_b32_e32 v1, v2
	s_delay_alu instid0(VALU_DEP_3) | instskip(SKIP_1) | instid1(VALU_DEP_3)
	v_add_co_u32 v3, vcc_lo, v3, 8
	s_wait_alu 0xfffd
	v_add_co_ci_u32_e64 v4, null, 0, v4, vcc_lo
	s_wait_kmcnt 0x0
	s_and_b32 s6, s2, 0xffff
	s_delay_alu instid0(SALU_CYCLE_1)
	s_lshl_b32 s7, s6, 4
.LBB50_24:                              ; =>This Inner Loop Header: Depth=1
	global_load_b32 v11, v2, s[8:9]
	global_load_b128 v[5:8], v[3:4], off offset:-8
	v_add_co_u32 v0, vcc_lo, v0, s6
	s_wait_alu 0xfffd
	v_add_co_ci_u32_e64 v1, null, 0, v1, vcc_lo
	s_delay_alu instid0(VALU_DEP_1) | instskip(NEXT) | instid1(VALU_DEP_1)
	v_lshlrev_b64_e32 v[9:10], 2, v[0:1]
	v_cmp_le_i64_e32 vcc_lo, s[4:5], v[9:10]
	s_wait_loadcnt 0x1
	v_readfirstlane_b32 s0, v11
	s_wait_loadcnt 0x0
	v_sub_nc_u32_e32 v10, 0, v5
	v_ashrrev_i32_e32 v11, 31, v6
	v_ashrrev_i32_e32 v13, 31, v7
	;; [unrolled: 1-line block ×3, first 2 shown]
	s_mul_i32 s0, s0, s10
	v_max_i32_e32 v5, v5, v10
	s_wait_alu 0xfffe
	s_abs_i32 s12, s0
	s_ashr_i32 s1, s0, 31
	s_wait_alu 0xfffe
	s_cvt_f32_u32 s0, s12
	v_xor_b32_e32 v10, s1, v11
	v_xor_b32_e32 v11, s1, v13
	v_sub_nc_u32_e32 v12, 0, v6
	s_wait_alu 0xfffe
	v_rcp_iflag_f32_e32 v13, s0
	v_ashrrev_i32_e32 v15, 31, v8
	s_sub_co_i32 s2, 0, s12
	v_xor_b32_e32 v9, s1, v9
	v_max_i32_e32 v6, v6, v12
	v_sub_nc_u32_e32 v14, 0, v7
	v_xor_b32_e32 v12, s1, v15
	v_sub_nc_u32_e32 v16, 0, v8
	s_delay_alu instid0(VALU_DEP_3) | instskip(NEXT) | instid1(TRANS32_DEP_1)
	v_max_i32_e32 v7, v7, v14
	v_readfirstlane_b32 s0, v13
	s_delay_alu instid0(VALU_DEP_3) | instskip(SKIP_2) | instid1(SALU_CYCLE_2)
	v_max_i32_e32 v8, v8, v16
	s_mul_f32 s0, s0, 0x4f7ffffe
	s_wait_alu 0xfffe
	s_cvt_u32_f32 s0, s0
	s_wait_alu 0xfffe
	s_delay_alu instid0(SALU_CYCLE_2)
	s_mul_i32 s2, s2, s0
	s_wait_alu 0xfffe
	s_mul_hi_u32 s1, s0, s2
	s_wait_alu 0xfffe
	s_add_co_i32 s0, s0, s1
	s_or_b32 s11, vcc_lo, s11
	s_wait_alu 0xfffe
	v_mul_hi_u32 v13, v5, s0
	v_mul_hi_u32 v14, v6, s0
	;; [unrolled: 1-line block ×4, first 2 shown]
	s_delay_alu instid0(VALU_DEP_4) | instskip(NEXT) | instid1(VALU_DEP_4)
	v_mul_lo_u32 v17, v13, s12
	v_mul_lo_u32 v19, v14, s12
	s_delay_alu instid0(VALU_DEP_4)
	v_mul_lo_u32 v20, v15, s12
	v_add_nc_u32_e32 v18, 1, v13
	v_mul_lo_u32 v21, v16, s12
	v_add_nc_u32_e32 v22, 1, v14
	v_add_nc_u32_e32 v23, 1, v15
	;; [unrolled: 1-line block ×3, first 2 shown]
	v_sub_nc_u32_e32 v5, v5, v17
	v_sub_nc_u32_e32 v6, v6, v19
	;; [unrolled: 1-line block ×4, first 2 shown]
	s_delay_alu instid0(VALU_DEP_4)
	v_cmp_le_u32_e64 s0, s12, v5
	v_subrev_nc_u32_e32 v17, s12, v5
	v_cmp_le_u32_e64 s1, s12, v6
	v_cmp_le_u32_e64 s2, s12, v7
	v_subrev_nc_u32_e32 v19, s12, v7
	s_wait_alu 0xf1ff
	v_cndmask_b32_e64 v13, v13, v18, s0
	v_subrev_nc_u32_e32 v18, s12, v6
	v_cndmask_b32_e64 v5, v5, v17, s0
	v_cndmask_b32_e64 v14, v14, v22, s1
	;; [unrolled: 1-line block ×3, first 2 shown]
	v_add_nc_u32_e32 v17, 1, v13
	v_cndmask_b32_e64 v6, v6, v18, s1
	v_cmp_le_u32_e64 s0, s12, v5
	v_cmp_le_u32_e64 s3, s12, v8
	v_subrev_nc_u32_e32 v20, s12, v8
	v_add_nc_u32_e32 v18, 1, v14
	v_cndmask_b32_e64 v7, v7, v19, s2
	s_wait_alu 0xf1ff
	v_cndmask_b32_e64 v5, v13, v17, s0
	v_cmp_le_u32_e64 s0, s12, v6
	v_cndmask_b32_e64 v16, v16, v24, s3
	v_add_nc_u32_e32 v19, 1, v15
	v_cndmask_b32_e64 v8, v8, v20, s3
	v_xor_b32_e32 v5, v5, v9
	s_wait_alu 0xf1ff
	v_cndmask_b32_e64 v6, v14, v18, s0
	v_cmp_le_u32_e64 s0, s12, v7
	v_add_nc_u32_e32 v20, 1, v16
	v_sub_nc_u32_e32 v5, v5, v9
	s_delay_alu instid0(VALU_DEP_4) | instskip(SKIP_3) | instid1(VALU_DEP_3)
	v_xor_b32_e32 v6, v6, v10
	s_wait_alu 0xf1ff
	v_cndmask_b32_e64 v7, v15, v19, s0
	v_cmp_le_u32_e64 s0, s12, v8
	v_sub_nc_u32_e32 v6, v6, v10
	s_delay_alu instid0(VALU_DEP_3) | instskip(SKIP_1) | instid1(VALU_DEP_3)
	v_xor_b32_e32 v7, v7, v11
	s_wait_alu 0xf1ff
	v_cndmask_b32_e64 v8, v16, v20, s0
	s_delay_alu instid0(VALU_DEP_2) | instskip(NEXT) | instid1(VALU_DEP_2)
	v_sub_nc_u32_e32 v7, v7, v11
	v_xor_b32_e32 v8, v8, v12
	s_delay_alu instid0(VALU_DEP_1)
	v_sub_nc_u32_e32 v8, v8, v12
	global_store_b128 v[3:4], v[5:8], off offset:-8
	v_add_co_u32 v3, s0, v3, s7
	s_wait_alu 0xf1ff
	v_add_co_ci_u32_e64 v4, null, 0, v4, s0
	s_and_not1_b32 exec_lo, exec_lo, s11
	s_cbranch_execnz .LBB50_24
.LBB50_25:
	s_endpgm
	.section	.rodata,"a",@progbits
	.p2align	6, 0x0
	.amdhsa_kernel _ZN2at6native12_GLOBAL__N_125multi_tensor_apply_kernelINS1_18TensorListMetadataILi1EEENS1_27BinaryOpScalarTensorFunctorIiLi1ELi1ELi0EEEJSt7dividesIiEPiiEEEvT_T0_DpT1_
		.amdhsa_group_segment_fixed_size 0
		.amdhsa_private_segment_fixed_size 0
		.amdhsa_kernarg_size 3648
		.amdhsa_user_sgpr_count 2
		.amdhsa_user_sgpr_dispatch_ptr 0
		.amdhsa_user_sgpr_queue_ptr 0
		.amdhsa_user_sgpr_kernarg_segment_ptr 1
		.amdhsa_user_sgpr_dispatch_id 0
		.amdhsa_user_sgpr_private_segment_size 0
		.amdhsa_wavefront_size32 1
		.amdhsa_uses_dynamic_stack 0
		.amdhsa_enable_private_segment 0
		.amdhsa_system_sgpr_workgroup_id_x 1
		.amdhsa_system_sgpr_workgroup_id_y 0
		.amdhsa_system_sgpr_workgroup_id_z 0
		.amdhsa_system_sgpr_workgroup_info 0
		.amdhsa_system_vgpr_workitem_id 0
		.amdhsa_next_free_vgpr 25
		.amdhsa_next_free_sgpr 30
		.amdhsa_reserve_vcc 1
		.amdhsa_float_round_mode_32 0
		.amdhsa_float_round_mode_16_64 0
		.amdhsa_float_denorm_mode_32 3
		.amdhsa_float_denorm_mode_16_64 3
		.amdhsa_fp16_overflow 0
		.amdhsa_workgroup_processor_mode 1
		.amdhsa_memory_ordered 1
		.amdhsa_forward_progress 1
		.amdhsa_inst_pref_size 19
		.amdhsa_round_robin_scheduling 0
		.amdhsa_exception_fp_ieee_invalid_op 0
		.amdhsa_exception_fp_denorm_src 0
		.amdhsa_exception_fp_ieee_div_zero 0
		.amdhsa_exception_fp_ieee_overflow 0
		.amdhsa_exception_fp_ieee_underflow 0
		.amdhsa_exception_fp_ieee_inexact 0
		.amdhsa_exception_int_div_zero 0
	.end_amdhsa_kernel
	.section	.text._ZN2at6native12_GLOBAL__N_125multi_tensor_apply_kernelINS1_18TensorListMetadataILi1EEENS1_27BinaryOpScalarTensorFunctorIiLi1ELi1ELi0EEEJSt7dividesIiEPiiEEEvT_T0_DpT1_,"axG",@progbits,_ZN2at6native12_GLOBAL__N_125multi_tensor_apply_kernelINS1_18TensorListMetadataILi1EEENS1_27BinaryOpScalarTensorFunctorIiLi1ELi1ELi0EEEJSt7dividesIiEPiiEEEvT_T0_DpT1_,comdat
.Lfunc_end50:
	.size	_ZN2at6native12_GLOBAL__N_125multi_tensor_apply_kernelINS1_18TensorListMetadataILi1EEENS1_27BinaryOpScalarTensorFunctorIiLi1ELi1ELi0EEEJSt7dividesIiEPiiEEEvT_T0_DpT1_, .Lfunc_end50-_ZN2at6native12_GLOBAL__N_125multi_tensor_apply_kernelINS1_18TensorListMetadataILi1EEENS1_27BinaryOpScalarTensorFunctorIiLi1ELi1ELi0EEEJSt7dividesIiEPiiEEEvT_T0_DpT1_
                                        ; -- End function
	.set _ZN2at6native12_GLOBAL__N_125multi_tensor_apply_kernelINS1_18TensorListMetadataILi1EEENS1_27BinaryOpScalarTensorFunctorIiLi1ELi1ELi0EEEJSt7dividesIiEPiiEEEvT_T0_DpT1_.num_vgpr, 25
	.set _ZN2at6native12_GLOBAL__N_125multi_tensor_apply_kernelINS1_18TensorListMetadataILi1EEENS1_27BinaryOpScalarTensorFunctorIiLi1ELi1ELi0EEEJSt7dividesIiEPiiEEEvT_T0_DpT1_.num_agpr, 0
	.set _ZN2at6native12_GLOBAL__N_125multi_tensor_apply_kernelINS1_18TensorListMetadataILi1EEENS1_27BinaryOpScalarTensorFunctorIiLi1ELi1ELi0EEEJSt7dividesIiEPiiEEEvT_T0_DpT1_.numbered_sgpr, 30
	.set _ZN2at6native12_GLOBAL__N_125multi_tensor_apply_kernelINS1_18TensorListMetadataILi1EEENS1_27BinaryOpScalarTensorFunctorIiLi1ELi1ELi0EEEJSt7dividesIiEPiiEEEvT_T0_DpT1_.num_named_barrier, 0
	.set _ZN2at6native12_GLOBAL__N_125multi_tensor_apply_kernelINS1_18TensorListMetadataILi1EEENS1_27BinaryOpScalarTensorFunctorIiLi1ELi1ELi0EEEJSt7dividesIiEPiiEEEvT_T0_DpT1_.private_seg_size, 0
	.set _ZN2at6native12_GLOBAL__N_125multi_tensor_apply_kernelINS1_18TensorListMetadataILi1EEENS1_27BinaryOpScalarTensorFunctorIiLi1ELi1ELi0EEEJSt7dividesIiEPiiEEEvT_T0_DpT1_.uses_vcc, 1
	.set _ZN2at6native12_GLOBAL__N_125multi_tensor_apply_kernelINS1_18TensorListMetadataILi1EEENS1_27BinaryOpScalarTensorFunctorIiLi1ELi1ELi0EEEJSt7dividesIiEPiiEEEvT_T0_DpT1_.uses_flat_scratch, 0
	.set _ZN2at6native12_GLOBAL__N_125multi_tensor_apply_kernelINS1_18TensorListMetadataILi1EEENS1_27BinaryOpScalarTensorFunctorIiLi1ELi1ELi0EEEJSt7dividesIiEPiiEEEvT_T0_DpT1_.has_dyn_sized_stack, 0
	.set _ZN2at6native12_GLOBAL__N_125multi_tensor_apply_kernelINS1_18TensorListMetadataILi1EEENS1_27BinaryOpScalarTensorFunctorIiLi1ELi1ELi0EEEJSt7dividesIiEPiiEEEvT_T0_DpT1_.has_recursion, 0
	.set _ZN2at6native12_GLOBAL__N_125multi_tensor_apply_kernelINS1_18TensorListMetadataILi1EEENS1_27BinaryOpScalarTensorFunctorIiLi1ELi1ELi0EEEJSt7dividesIiEPiiEEEvT_T0_DpT1_.has_indirect_call, 0
	.section	.AMDGPU.csdata,"",@progbits
; Kernel info:
; codeLenInByte = 2352
; TotalNumSgprs: 32
; NumVgprs: 25
; ScratchSize: 0
; MemoryBound: 0
; FloatMode: 240
; IeeeMode: 1
; LDSByteSize: 0 bytes/workgroup (compile time only)
; SGPRBlocks: 0
; VGPRBlocks: 3
; NumSGPRsForWavesPerEU: 32
; NumVGPRsForWavesPerEU: 25
; Occupancy: 16
; WaveLimiterHint : 0
; COMPUTE_PGM_RSRC2:SCRATCH_EN: 0
; COMPUTE_PGM_RSRC2:USER_SGPR: 2
; COMPUTE_PGM_RSRC2:TRAP_HANDLER: 0
; COMPUTE_PGM_RSRC2:TGID_X_EN: 1
; COMPUTE_PGM_RSRC2:TGID_Y_EN: 0
; COMPUTE_PGM_RSRC2:TGID_Z_EN: 0
; COMPUTE_PGM_RSRC2:TIDIG_COMP_CNT: 0
	.section	.text._ZN2at6native12_GLOBAL__N_125multi_tensor_apply_kernelINS1_18TensorListMetadataILi1EEENS1_27BinaryOpScalarTensorFunctorIlLi1ELi1ELi0EEEJSt7dividesIlEPllEEEvT_T0_DpT1_,"axG",@progbits,_ZN2at6native12_GLOBAL__N_125multi_tensor_apply_kernelINS1_18TensorListMetadataILi1EEENS1_27BinaryOpScalarTensorFunctorIlLi1ELi1ELi0EEEJSt7dividesIlEPllEEEvT_T0_DpT1_,comdat
	.globl	_ZN2at6native12_GLOBAL__N_125multi_tensor_apply_kernelINS1_18TensorListMetadataILi1EEENS1_27BinaryOpScalarTensorFunctorIlLi1ELi1ELi0EEEJSt7dividesIlEPllEEEvT_T0_DpT1_ ; -- Begin function _ZN2at6native12_GLOBAL__N_125multi_tensor_apply_kernelINS1_18TensorListMetadataILi1EEENS1_27BinaryOpScalarTensorFunctorIlLi1ELi1ELi0EEEJSt7dividesIlEPllEEEvT_T0_DpT1_
	.p2align	8
	.type	_ZN2at6native12_GLOBAL__N_125multi_tensor_apply_kernelINS1_18TensorListMetadataILi1EEENS1_27BinaryOpScalarTensorFunctorIlLi1ELi1ELi0EEEJSt7dividesIlEPllEEEvT_T0_DpT1_,@function
_ZN2at6native12_GLOBAL__N_125multi_tensor_apply_kernelINS1_18TensorListMetadataILi1EEENS1_27BinaryOpScalarTensorFunctorIlLi1ELi1ELi0EEEJSt7dividesIlEPllEEEvT_T0_DpT1_: ; @_ZN2at6native12_GLOBAL__N_125multi_tensor_apply_kernelINS1_18TensorListMetadataILi1EEENS1_27BinaryOpScalarTensorFunctorIlLi1ELi1ELi0EEEJSt7dividesIlEPllEEEvT_T0_DpT1_
; %bb.0:
	s_mov_b32 s2, ttmp9
	s_mov_b32 s3, 0
	s_delay_alu instid0(SALU_CYCLE_1)
	s_mul_u64 s[4:5], s[2:3], 3
	s_add_nc_u64 s[6:7], s[0:1], s[2:3]
	s_mov_b32 s17, s3
	s_add_nc_u64 s[4:5], s[6:7], s[4:5]
	s_clause 0x1
	s_load_b32 s4, s[4:5], 0x820
	s_load_u8 s2, s[0:1], ttmp9 offset:0x6e0
	s_wait_kmcnt 0x0
	s_ashr_i32 s5, s4, 31
	s_lshl_b32 s2, s2, 3
	s_clause 0x2
	s_load_b64 s[12:13], s[0:1], s2 offset:0x0
	s_load_b64 s[6:7], s[0:1], s2 offset:0x370
	s_load_b128 s[8:11], s[0:1], 0xd30
	s_lshl_b64 s[14:15], s[4:5], 19
	s_lshl_b64 s[4:5], s[4:5], 16
	s_wait_kmcnt 0x0
	s_and_b32 s2, s12, 31
	s_and_b32 s16, s6, 3
	s_delay_alu instid0(SALU_CYCLE_1)
	s_or_b64 s[2:3], s[2:3], s[16:17]
	s_sub_nc_u64 s[16:17], s[6:7], s[4:5]
	s_cmp_eq_u64 s[2:3], 0
	s_cbranch_scc1 .LBB51_37
; %bb.1:
	v_cmp_lt_i64_e64 s2, s[16:17], 1
	s_and_b32 vcc_lo, exec_lo, s2
	s_cbranch_vccnz .LBB51_36
; %bb.2:
	s_load_b32 s4, s[0:1], 0xd4c
	v_cmp_gt_i64_e64 s5, 0x10000, s[16:17]
	v_dual_mov_b32 v1, 0 :: v_dual_lshlrev_b32 v2, 3, v0
	s_add_nc_u64 s[2:3], s[12:13], s[14:15]
	v_cmp_gt_u64_e64 s18, 0x10000, s[16:17]
	s_mov_b32 s7, 0
	s_and_b32 s5, s5, exec_lo
	v_add_co_u32 v3, s6, s2, v2
	s_delay_alu instid0(VALU_DEP_1)
	v_add_co_ci_u32_e64 v4, null, s3, 0, s6
	s_cselect_b32 s21, s17, 0
	s_cselect_b32 s20, s16, 0x10000
	s_mov_b32 s19, s7
	s_wait_kmcnt 0x0
	s_and_b32 s6, s4, 0xffff
	s_and_b32 s4, s18, exec_lo
	s_wait_alu 0xfffe
	v_add_co_u32 v17, s26, v0, s6
	s_cselect_b32 s23, s17, 0
	s_cselect_b32 s22, s16, 0x10000
	s_lshl_b32 s4, s6, 1
	v_lshlrev_b32_e32 v2, 3, v17
	s_mul_i32 s5, s6, 3
	v_add_co_u32 v21, s4, s4, v0
	v_add_co_u32 v18, s5, s5, v0
	s_delay_alu instid0(VALU_DEP_3)
	v_add_co_u32 v5, s2, s2, v2
	s_wait_alu 0xf1ff
	v_add_co_ci_u32_e64 v19, null, 0, 0, s5
	v_add_co_ci_u32_e64 v20, null, 0, 0, s26
	;; [unrolled: 1-line block ×4, first 2 shown]
	s_lshl_b32 s18, s6, 2
	s_mul_u64 s[24:25], s[6:7], 24
	s_lshl_b32 s33, s6, 5
	s_lshl_b32 s36, s6, 4
	s_mov_b64 s[26:27], 0
	s_branch .LBB51_4
.LBB51_3:                               ;   in Loop: Header=BB51_4 Depth=1
	s_wait_alu 0xfffe
	s_or_b32 exec_lo, exec_lo, s2
	s_add_nc_u64 s[26:27], s[26:27], s[18:19]
	v_add_co_u32 v3, vcc_lo, v3, s33
	s_wait_alu 0xfffe
	v_cmp_lt_i64_e64 s2, s[26:27], s[20:21]
	s_wait_alu 0xfffd
	v_add_co_ci_u32_e64 v4, null, 0, v4, vcc_lo
	v_add_co_u32 v5, vcc_lo, v5, s33
	s_wait_alu 0xfffd
	v_add_co_ci_u32_e64 v6, null, 0, v6, vcc_lo
	s_and_b32 vcc_lo, exec_lo, s2
	s_wait_alu 0xfffe
	s_cbranch_vccz .LBB51_36
.LBB51_4:                               ; =>This Inner Loop Header: Depth=1
	s_wait_alu 0xfffe
	v_add_co_u32 v7, s2, v0, s26
	s_wait_alu 0xf1ff
	v_add_co_ci_u32_e64 v8, null, 0, s27, s2
	v_mov_b32_e32 v13, 0
	v_mov_b32_e32 v14, 0
	s_delay_alu instid0(VALU_DEP_3)
	v_cmp_gt_u64_e64 s5, s[22:23], v[7:8]
	v_mov_b32_e32 v7, 0
	v_mov_b32_e32 v8, 0
	s_and_saveexec_b32 s2, s5
	s_cbranch_execz .LBB51_6
; %bb.5:                                ;   in Loop: Header=BB51_4 Depth=1
	global_load_b64 v[7:8], v[3:4], off
.LBB51_6:                               ;   in Loop: Header=BB51_4 Depth=1
	s_wait_alu 0xfffe
	s_or_b32 exec_lo, exec_lo, s2
	v_add_co_u32 v9, vcc_lo, v17, s26
	s_wait_alu 0xfffd
	v_add_co_ci_u32_e64 v10, null, s27, v20, vcc_lo
	s_delay_alu instid0(VALU_DEP_1)
	v_cmp_gt_u64_e64 s2, s[22:23], v[9:10]
	s_and_saveexec_b32 s3, s2
	s_cbranch_execz .LBB51_8
; %bb.7:                                ;   in Loop: Header=BB51_4 Depth=1
	global_load_b64 v[13:14], v[5:6], off
.LBB51_8:                               ;   in Loop: Header=BB51_4 Depth=1
	s_wait_alu 0xfffe
	s_or_b32 exec_lo, exec_lo, s3
	v_add_co_u32 v9, vcc_lo, v21, s26
	s_wait_alu 0xfffd
	v_add_co_ci_u32_e64 v10, null, s27, v22, vcc_lo
	v_mov_b32_e32 v11, 0
	v_dual_mov_b32 v12, 0 :: v_dual_mov_b32 v15, 0
	s_delay_alu instid0(VALU_DEP_3)
	v_cmp_gt_u64_e64 s3, s[22:23], v[9:10]
	v_mov_b32_e32 v16, 0
	s_and_saveexec_b32 s4, s3
	s_cbranch_execz .LBB51_10
; %bb.9:                                ;   in Loop: Header=BB51_4 Depth=1
	v_add_co_u32 v9, vcc_lo, v3, s36
	s_wait_alu 0xfffd
	v_add_co_ci_u32_e64 v10, null, 0, v4, vcc_lo
	global_load_b64 v[15:16], v[9:10], off
.LBB51_10:                              ;   in Loop: Header=BB51_4 Depth=1
	s_wait_alu 0xfffe
	s_or_b32 exec_lo, exec_lo, s4
	v_add_co_u32 v9, vcc_lo, v18, s26
	s_wait_alu 0xfffd
	v_add_co_ci_u32_e64 v10, null, s27, v19, vcc_lo
	s_delay_alu instid0(VALU_DEP_1)
	v_cmp_gt_u64_e64 s4, s[22:23], v[9:10]
	s_and_saveexec_b32 s6, s4
	s_cbranch_execz .LBB51_12
; %bb.11:                               ;   in Loop: Header=BB51_4 Depth=1
	v_add_co_u32 v9, vcc_lo, v3, s24
	s_wait_alu 0xfffd
	v_add_co_ci_u32_e64 v10, null, s25, v4, vcc_lo
	global_load_b64 v[11:12], v[9:10], off
.LBB51_12:                              ;   in Loop: Header=BB51_4 Depth=1
	s_wait_alu 0xfffe
	s_or_b32 exec_lo, exec_lo, s6
	global_load_b64 v[9:10], v1, s[8:9]
	s_mov_b32 s6, exec_lo
	s_wait_loadcnt 0x0
	v_readfirstlane_b32 s28, v9
	v_readfirstlane_b32 s29, v10
                                        ; implicit-def: $vgpr9_vgpr10
	s_mul_u64 s[28:29], s[28:29], s[10:11]
	s_wait_alu 0xfffe
	v_or_b32_e32 v2, s29, v14
	s_delay_alu instid0(VALU_DEP_1)
	v_cmpx_ne_u64_e32 0, v[1:2]
	s_xor_b32 s37, exec_lo, s6
	s_cbranch_execz .LBB51_14
; %bb.13:                               ;   in Loop: Header=BB51_4 Depth=1
	s_ashr_i32 s30, s29, 31
	v_ashrrev_i32_e32 v2, 31, v14
	s_wait_alu 0xfffe
	s_mov_b32 s31, s30
	s_wait_alu 0xfffe
	s_add_nc_u64 s[34:35], s[28:29], s[30:31]
	v_add_co_u32 v9, vcc_lo, v13, v2
	s_wait_alu 0xfffe
	s_xor_b64 s[34:35], s[34:35], s[30:31]
	s_wait_alu 0xfffd
	v_add_co_ci_u32_e64 v10, null, v14, v2, vcc_lo
	s_wait_alu 0xfffe
	s_cvt_f32_u32 s6, s34
	s_cvt_f32_u32 s31, s35
	s_sub_nc_u64 s[40:41], 0, s[34:35]
	v_xor_b32_e32 v25, v9, v2
	v_xor_b32_e32 v26, v10, v2
	s_wait_alu 0xfffe
	s_fmamk_f32 s6, s31, 0x4f800000, s6
	v_xor_b32_e32 v2, s30, v2
	s_wait_alu 0xfffe
	s_delay_alu instid0(SALU_CYCLE_1) | instskip(NEXT) | instid1(TRANS32_DEP_1)
	v_s_rcp_f32 s6, s6
	s_mul_f32 s6, s6, 0x5f7ffffc
	s_wait_alu 0xfffe
	s_delay_alu instid0(SALU_CYCLE_2) | instskip(SKIP_1) | instid1(SALU_CYCLE_2)
	s_mul_f32 s31, s6, 0x2f800000
	s_wait_alu 0xfffe
	s_trunc_f32 s31, s31
	s_wait_alu 0xfffe
	s_delay_alu instid0(SALU_CYCLE_2) | instskip(SKIP_2) | instid1(SALU_CYCLE_1)
	s_fmamk_f32 s6, s31, 0xcf800000, s6
	s_cvt_u32_f32 s39, s31
	s_wait_alu 0xfffe
	s_cvt_u32_f32 s38, s6
	s_delay_alu instid0(SALU_CYCLE_3) | instskip(NEXT) | instid1(SALU_CYCLE_1)
	s_mul_u64 s[42:43], s[40:41], s[38:39]
	s_mul_hi_u32 s45, s38, s43
	s_mul_i32 s44, s38, s43
	s_mul_hi_u32 s6, s38, s42
	s_mul_i32 s46, s39, s42
	s_wait_alu 0xfffe
	s_add_nc_u64 s[44:45], s[6:7], s[44:45]
	s_mul_hi_u32 s31, s39, s42
	s_mul_hi_u32 s47, s39, s43
	s_add_co_u32 s6, s44, s46
	s_wait_alu 0xfffe
	s_add_co_ci_u32 s6, s45, s31
	s_mul_i32 s42, s39, s43
	s_add_co_ci_u32 s43, s47, 0
	s_wait_alu 0xfffe
	s_add_nc_u64 s[42:43], s[6:7], s[42:43]
	s_delay_alu instid0(SALU_CYCLE_1) | instskip(SKIP_4) | instid1(SALU_CYCLE_1)
	s_add_co_u32 s38, s38, s42
	s_cselect_b32 s6, -1, 0
	s_wait_alu 0xfffe
	s_cmp_lg_u32 s6, 0
	s_add_co_ci_u32 s39, s39, s43
	s_mul_u64 s[40:41], s[40:41], s[38:39]
	s_delay_alu instid0(SALU_CYCLE_1)
	s_mul_hi_u32 s43, s38, s41
	s_mul_i32 s42, s38, s41
	s_mul_hi_u32 s6, s38, s40
	s_mul_i32 s44, s39, s40
	s_wait_alu 0xfffe
	s_add_nc_u64 s[42:43], s[6:7], s[42:43]
	s_mul_hi_u32 s31, s39, s40
	s_mul_hi_u32 s45, s39, s41
	s_add_co_u32 s6, s42, s44
	s_wait_alu 0xfffe
	s_add_co_ci_u32 s6, s43, s31
	s_mul_i32 s40, s39, s41
	s_add_co_ci_u32 s41, s45, 0
	s_wait_alu 0xfffe
	s_add_nc_u64 s[40:41], s[6:7], s[40:41]
	s_delay_alu instid0(SALU_CYCLE_1)
	s_add_co_u32 s6, s38, s40
	s_cselect_b32 s31, -1, 0
	s_wait_alu 0xfffe
	v_mul_hi_u32 v27, v25, s6
	s_cmp_lg_u32 s31, 0
	v_mad_co_u64_u32 v[13:14], null, v26, s6, 0
	s_add_co_ci_u32 s31, s39, s41
	s_wait_alu 0xfffe
	v_mad_co_u64_u32 v[9:10], null, v25, s31, 0
	v_mad_co_u64_u32 v[23:24], null, v26, s31, 0
	s_delay_alu instid0(VALU_DEP_2) | instskip(SKIP_1) | instid1(VALU_DEP_3)
	v_add_co_u32 v9, vcc_lo, v27, v9
	s_wait_alu 0xfffd
	v_add_co_ci_u32_e64 v10, null, 0, v10, vcc_lo
	s_delay_alu instid0(VALU_DEP_2) | instskip(SKIP_1) | instid1(VALU_DEP_2)
	v_add_co_u32 v9, vcc_lo, v9, v13
	s_wait_alu 0xfffd
	v_add_co_ci_u32_e32 v9, vcc_lo, v10, v14, vcc_lo
	s_wait_alu 0xfffd
	v_add_co_ci_u32_e32 v10, vcc_lo, 0, v24, vcc_lo
	s_delay_alu instid0(VALU_DEP_2) | instskip(SKIP_1) | instid1(VALU_DEP_2)
	v_add_co_u32 v13, vcc_lo, v9, v23
	s_wait_alu 0xfffd
	v_add_co_ci_u32_e64 v14, null, 0, v10, vcc_lo
	s_delay_alu instid0(VALU_DEP_2) | instskip(SKIP_1) | instid1(VALU_DEP_3)
	v_mul_lo_u32 v23, s35, v13
	v_mad_co_u64_u32 v[9:10], null, s34, v13, 0
	v_mul_lo_u32 v24, s34, v14
	s_delay_alu instid0(VALU_DEP_2) | instskip(NEXT) | instid1(VALU_DEP_2)
	v_sub_co_u32 v9, vcc_lo, v25, v9
	v_add3_u32 v10, v10, v24, v23
	v_add_co_u32 v24, s6, v13, 2
	s_wait_alu 0xf1ff
	v_add_co_ci_u32_e64 v25, null, 0, v14, s6
	s_delay_alu instid0(VALU_DEP_3) | instskip(SKIP_3) | instid1(VALU_DEP_3)
	v_sub_nc_u32_e32 v23, v26, v10
	v_sub_co_u32 v27, s6, v9, s34
	s_wait_alu 0xfffd
	v_sub_co_ci_u32_e64 v10, null, v26, v10, vcc_lo
	v_subrev_co_ci_u32_e64 v23, null, s35, v23, vcc_lo
	s_delay_alu instid0(VALU_DEP_3) | instskip(SKIP_1) | instid1(VALU_DEP_2)
	v_cmp_le_u32_e32 vcc_lo, s34, v27
	s_wait_alu 0xf1ff
	v_subrev_co_ci_u32_e64 v23, null, 0, v23, s6
	s_wait_alu 0xfffd
	v_cndmask_b32_e64 v26, 0, -1, vcc_lo
	s_delay_alu instid0(VALU_DEP_2)
	v_cmp_le_u32_e32 vcc_lo, s35, v23
	s_wait_alu 0xfffd
	v_cndmask_b32_e64 v27, 0, -1, vcc_lo
	v_cmp_le_u32_e32 vcc_lo, s34, v9
	s_wait_alu 0xfffd
	v_cndmask_b32_e64 v9, 0, -1, vcc_lo
	;; [unrolled: 3-line block ×3, first 2 shown]
	v_cmp_eq_u32_e32 vcc_lo, s35, v23
	s_wait_alu 0xfffd
	v_cndmask_b32_e32 v23, v27, v26, vcc_lo
	v_add_co_u32 v26, vcc_lo, v13, 1
	s_wait_alu 0xfffd
	v_add_co_ci_u32_e64 v27, null, 0, v14, vcc_lo
	v_cmp_eq_u32_e32 vcc_lo, s35, v10
	s_wait_alu 0xfffd
	v_cndmask_b32_e32 v9, v28, v9, vcc_lo
	v_cmp_ne_u32_e32 vcc_lo, 0, v23
	s_delay_alu instid0(VALU_DEP_2) | instskip(SKIP_3) | instid1(VALU_DEP_1)
	v_cmp_ne_u32_e64 s6, 0, v9
	s_wait_alu 0xfffd
	v_dual_cndmask_b32 v10, v27, v25 :: v_dual_cndmask_b32 v9, v26, v24
	s_wait_alu 0xf1ff
	v_cndmask_b32_e64 v10, v14, v10, s6
	s_delay_alu instid0(VALU_DEP_2) | instskip(NEXT) | instid1(VALU_DEP_2)
	v_cndmask_b32_e64 v9, v13, v9, s6
                                        ; implicit-def: $vgpr13_vgpr14
	v_xor_b32_e32 v10, v10, v2
	s_delay_alu instid0(VALU_DEP_2) | instskip(NEXT) | instid1(VALU_DEP_1)
	v_xor_b32_e32 v9, v9, v2
	v_sub_co_u32 v9, vcc_lo, v9, v2
	s_wait_alu 0xfffd
	s_delay_alu instid0(VALU_DEP_3)
	v_sub_co_ci_u32_e64 v10, null, v10, v2, vcc_lo
.LBB51_14:                              ;   in Loop: Header=BB51_4 Depth=1
	s_wait_alu 0xfffe
	s_and_not1_saveexec_b32 s6, s37
	s_cbranch_execz .LBB51_16
; %bb.15:                               ;   in Loop: Header=BB51_4 Depth=1
	v_cvt_f32_u32_e32 v2, s28
	s_sub_co_i32 s30, 0, s28
	s_delay_alu instid0(VALU_DEP_1) | instskip(NEXT) | instid1(TRANS32_DEP_1)
	v_rcp_iflag_f32_e32 v2, v2
	v_mul_f32_e32 v2, 0x4f7ffffe, v2
	s_delay_alu instid0(VALU_DEP_1) | instskip(SKIP_1) | instid1(VALU_DEP_1)
	v_cvt_u32_f32_e32 v2, v2
	s_wait_alu 0xfffe
	v_mul_lo_u32 v9, s30, v2
	s_delay_alu instid0(VALU_DEP_1) | instskip(NEXT) | instid1(VALU_DEP_1)
	v_mul_hi_u32 v9, v2, v9
	v_add_nc_u32_e32 v2, v2, v9
	s_delay_alu instid0(VALU_DEP_1) | instskip(NEXT) | instid1(VALU_DEP_1)
	v_mul_hi_u32 v2, v13, v2
	v_mul_lo_u32 v9, v2, s28
	v_add_nc_u32_e32 v10, 1, v2
	s_delay_alu instid0(VALU_DEP_2) | instskip(NEXT) | instid1(VALU_DEP_1)
	v_sub_nc_u32_e32 v9, v13, v9
	v_subrev_nc_u32_e32 v13, s28, v9
	v_cmp_le_u32_e32 vcc_lo, s28, v9
	s_wait_alu 0xfffd
	s_delay_alu instid0(VALU_DEP_2) | instskip(NEXT) | instid1(VALU_DEP_1)
	v_dual_cndmask_b32 v9, v9, v13 :: v_dual_cndmask_b32 v2, v2, v10
	v_cmp_le_u32_e32 vcc_lo, s28, v9
	s_delay_alu instid0(VALU_DEP_2) | instskip(SKIP_1) | instid1(VALU_DEP_1)
	v_add_nc_u32_e32 v10, 1, v2
	s_wait_alu 0xfffd
	v_dual_cndmask_b32 v9, v2, v10 :: v_dual_mov_b32 v10, v1
.LBB51_16:                              ;   in Loop: Header=BB51_4 Depth=1
	s_wait_alu 0xfffe
	s_or_b32 exec_lo, exec_lo, s6
	v_or_b32_e32 v2, s29, v16
                                        ; implicit-def: $vgpr13_vgpr14
	s_mov_b32 s6, exec_lo
	s_delay_alu instid0(VALU_DEP_1)
	v_cmpx_ne_u64_e32 0, v[1:2]
	s_wait_alu 0xfffe
	s_xor_b32 s37, exec_lo, s6
	s_cbranch_execz .LBB51_18
; %bb.17:                               ;   in Loop: Header=BB51_4 Depth=1
	s_ashr_i32 s30, s29, 31
	v_ashrrev_i32_e32 v2, 31, v16
	s_wait_alu 0xfffe
	s_mov_b32 s31, s30
	s_wait_alu 0xfffe
	s_add_nc_u64 s[34:35], s[28:29], s[30:31]
	v_add_co_u32 v13, vcc_lo, v15, v2
	s_wait_alu 0xfffe
	s_xor_b64 s[34:35], s[34:35], s[30:31]
	s_wait_alu 0xfffd
	v_add_co_ci_u32_e64 v14, null, v16, v2, vcc_lo
	s_wait_alu 0xfffe
	s_cvt_f32_u32 s6, s34
	s_cvt_f32_u32 s31, s35
	s_sub_nc_u64 s[40:41], 0, s[34:35]
	v_xor_b32_e32 v25, v13, v2
	v_xor_b32_e32 v26, v14, v2
	s_wait_alu 0xfffe
	s_fmamk_f32 s6, s31, 0x4f800000, s6
	v_xor_b32_e32 v2, s30, v2
	s_wait_alu 0xfffe
	s_delay_alu instid0(SALU_CYCLE_1) | instskip(NEXT) | instid1(TRANS32_DEP_1)
	v_s_rcp_f32 s6, s6
	s_mul_f32 s6, s6, 0x5f7ffffc
	s_wait_alu 0xfffe
	s_delay_alu instid0(SALU_CYCLE_2) | instskip(SKIP_1) | instid1(SALU_CYCLE_2)
	s_mul_f32 s31, s6, 0x2f800000
	s_wait_alu 0xfffe
	s_trunc_f32 s31, s31
	s_wait_alu 0xfffe
	s_delay_alu instid0(SALU_CYCLE_2) | instskip(SKIP_2) | instid1(SALU_CYCLE_1)
	s_fmamk_f32 s6, s31, 0xcf800000, s6
	s_cvt_u32_f32 s39, s31
	s_wait_alu 0xfffe
	s_cvt_u32_f32 s38, s6
	s_delay_alu instid0(SALU_CYCLE_3) | instskip(NEXT) | instid1(SALU_CYCLE_1)
	s_mul_u64 s[42:43], s[40:41], s[38:39]
	s_mul_hi_u32 s45, s38, s43
	s_mul_i32 s44, s38, s43
	s_mul_hi_u32 s6, s38, s42
	s_mul_i32 s46, s39, s42
	s_wait_alu 0xfffe
	s_add_nc_u64 s[44:45], s[6:7], s[44:45]
	s_mul_hi_u32 s31, s39, s42
	s_mul_hi_u32 s47, s39, s43
	s_add_co_u32 s6, s44, s46
	s_wait_alu 0xfffe
	s_add_co_ci_u32 s6, s45, s31
	s_mul_i32 s42, s39, s43
	s_add_co_ci_u32 s43, s47, 0
	s_wait_alu 0xfffe
	s_add_nc_u64 s[42:43], s[6:7], s[42:43]
	s_delay_alu instid0(SALU_CYCLE_1) | instskip(SKIP_4) | instid1(SALU_CYCLE_1)
	s_add_co_u32 s38, s38, s42
	s_cselect_b32 s6, -1, 0
	s_wait_alu 0xfffe
	s_cmp_lg_u32 s6, 0
	s_add_co_ci_u32 s39, s39, s43
	s_mul_u64 s[40:41], s[40:41], s[38:39]
	s_delay_alu instid0(SALU_CYCLE_1)
	s_mul_hi_u32 s43, s38, s41
	s_mul_i32 s42, s38, s41
	s_mul_hi_u32 s6, s38, s40
	s_mul_i32 s44, s39, s40
	s_wait_alu 0xfffe
	s_add_nc_u64 s[42:43], s[6:7], s[42:43]
	s_mul_hi_u32 s31, s39, s40
	s_mul_hi_u32 s45, s39, s41
	s_add_co_u32 s6, s42, s44
	s_wait_alu 0xfffe
	s_add_co_ci_u32 s6, s43, s31
	s_mul_i32 s40, s39, s41
	s_add_co_ci_u32 s41, s45, 0
	s_wait_alu 0xfffe
	s_add_nc_u64 s[40:41], s[6:7], s[40:41]
	s_delay_alu instid0(SALU_CYCLE_1)
	s_add_co_u32 s6, s38, s40
	s_cselect_b32 s31, -1, 0
	s_wait_alu 0xfffe
	v_mul_hi_u32 v27, v25, s6
	s_cmp_lg_u32 s31, 0
	v_mad_co_u64_u32 v[15:16], null, v26, s6, 0
	s_add_co_ci_u32 s31, s39, s41
	s_wait_alu 0xfffe
	v_mad_co_u64_u32 v[13:14], null, v25, s31, 0
	v_mad_co_u64_u32 v[23:24], null, v26, s31, 0
	s_delay_alu instid0(VALU_DEP_2) | instskip(SKIP_1) | instid1(VALU_DEP_3)
	v_add_co_u32 v13, vcc_lo, v27, v13
	s_wait_alu 0xfffd
	v_add_co_ci_u32_e64 v14, null, 0, v14, vcc_lo
	s_delay_alu instid0(VALU_DEP_2) | instskip(SKIP_1) | instid1(VALU_DEP_2)
	v_add_co_u32 v13, vcc_lo, v13, v15
	s_wait_alu 0xfffd
	v_add_co_ci_u32_e32 v13, vcc_lo, v14, v16, vcc_lo
	s_wait_alu 0xfffd
	v_add_co_ci_u32_e32 v14, vcc_lo, 0, v24, vcc_lo
	s_delay_alu instid0(VALU_DEP_2) | instskip(SKIP_1) | instid1(VALU_DEP_2)
	v_add_co_u32 v15, vcc_lo, v13, v23
	s_wait_alu 0xfffd
	v_add_co_ci_u32_e64 v16, null, 0, v14, vcc_lo
	s_delay_alu instid0(VALU_DEP_2) | instskip(SKIP_1) | instid1(VALU_DEP_3)
	v_mul_lo_u32 v23, s35, v15
	v_mad_co_u64_u32 v[13:14], null, s34, v15, 0
	v_mul_lo_u32 v24, s34, v16
	s_delay_alu instid0(VALU_DEP_2) | instskip(NEXT) | instid1(VALU_DEP_2)
	v_sub_co_u32 v13, vcc_lo, v25, v13
	v_add3_u32 v14, v14, v24, v23
	v_add_co_u32 v24, s6, v15, 2
	s_wait_alu 0xf1ff
	v_add_co_ci_u32_e64 v25, null, 0, v16, s6
	s_delay_alu instid0(VALU_DEP_3) | instskip(SKIP_3) | instid1(VALU_DEP_3)
	v_sub_nc_u32_e32 v23, v26, v14
	v_sub_co_u32 v27, s6, v13, s34
	s_wait_alu 0xfffd
	v_sub_co_ci_u32_e64 v14, null, v26, v14, vcc_lo
	v_subrev_co_ci_u32_e64 v23, null, s35, v23, vcc_lo
	s_delay_alu instid0(VALU_DEP_3) | instskip(SKIP_1) | instid1(VALU_DEP_2)
	v_cmp_le_u32_e32 vcc_lo, s34, v27
	s_wait_alu 0xf1ff
	v_subrev_co_ci_u32_e64 v23, null, 0, v23, s6
	s_wait_alu 0xfffd
	v_cndmask_b32_e64 v26, 0, -1, vcc_lo
	s_delay_alu instid0(VALU_DEP_2)
	v_cmp_le_u32_e32 vcc_lo, s35, v23
	s_wait_alu 0xfffd
	v_cndmask_b32_e64 v27, 0, -1, vcc_lo
	v_cmp_le_u32_e32 vcc_lo, s34, v13
	s_wait_alu 0xfffd
	v_cndmask_b32_e64 v13, 0, -1, vcc_lo
	;; [unrolled: 3-line block ×3, first 2 shown]
	v_cmp_eq_u32_e32 vcc_lo, s35, v23
	s_wait_alu 0xfffd
	v_cndmask_b32_e32 v23, v27, v26, vcc_lo
	v_add_co_u32 v26, vcc_lo, v15, 1
	s_wait_alu 0xfffd
	v_add_co_ci_u32_e64 v27, null, 0, v16, vcc_lo
	v_cmp_eq_u32_e32 vcc_lo, s35, v14
	s_wait_alu 0xfffd
	v_cndmask_b32_e32 v13, v28, v13, vcc_lo
	v_cmp_ne_u32_e32 vcc_lo, 0, v23
	s_delay_alu instid0(VALU_DEP_2) | instskip(SKIP_3) | instid1(VALU_DEP_1)
	v_cmp_ne_u32_e64 s6, 0, v13
	s_wait_alu 0xfffd
	v_dual_cndmask_b32 v14, v27, v25 :: v_dual_cndmask_b32 v13, v26, v24
	s_wait_alu 0xf1ff
	v_cndmask_b32_e64 v14, v16, v14, s6
	s_delay_alu instid0(VALU_DEP_2) | instskip(NEXT) | instid1(VALU_DEP_2)
	v_cndmask_b32_e64 v13, v15, v13, s6
                                        ; implicit-def: $vgpr15_vgpr16
	v_xor_b32_e32 v14, v14, v2
	s_delay_alu instid0(VALU_DEP_2) | instskip(NEXT) | instid1(VALU_DEP_1)
	v_xor_b32_e32 v13, v13, v2
	v_sub_co_u32 v13, vcc_lo, v13, v2
	s_wait_alu 0xfffd
	s_delay_alu instid0(VALU_DEP_3)
	v_sub_co_ci_u32_e64 v14, null, v14, v2, vcc_lo
.LBB51_18:                              ;   in Loop: Header=BB51_4 Depth=1
	s_wait_alu 0xfffe
	s_and_not1_saveexec_b32 s6, s37
	s_cbranch_execz .LBB51_20
; %bb.19:                               ;   in Loop: Header=BB51_4 Depth=1
	v_cvt_f32_u32_e32 v2, s28
	s_sub_co_i32 s30, 0, s28
	s_delay_alu instid0(VALU_DEP_1) | instskip(NEXT) | instid1(TRANS32_DEP_1)
	v_rcp_iflag_f32_e32 v2, v2
	v_mul_f32_e32 v2, 0x4f7ffffe, v2
	s_delay_alu instid0(VALU_DEP_1) | instskip(SKIP_1) | instid1(VALU_DEP_1)
	v_cvt_u32_f32_e32 v2, v2
	s_wait_alu 0xfffe
	v_mul_lo_u32 v13, s30, v2
	s_delay_alu instid0(VALU_DEP_1) | instskip(NEXT) | instid1(VALU_DEP_1)
	v_mul_hi_u32 v13, v2, v13
	v_add_nc_u32_e32 v2, v2, v13
	s_delay_alu instid0(VALU_DEP_1) | instskip(NEXT) | instid1(VALU_DEP_1)
	v_mul_hi_u32 v2, v15, v2
	v_mul_lo_u32 v13, v2, s28
	v_add_nc_u32_e32 v14, 1, v2
	s_delay_alu instid0(VALU_DEP_2) | instskip(NEXT) | instid1(VALU_DEP_1)
	v_sub_nc_u32_e32 v13, v15, v13
	v_subrev_nc_u32_e32 v15, s28, v13
	v_cmp_le_u32_e32 vcc_lo, s28, v13
	s_wait_alu 0xfffd
	s_delay_alu instid0(VALU_DEP_2) | instskip(NEXT) | instid1(VALU_DEP_1)
	v_dual_cndmask_b32 v13, v13, v15 :: v_dual_cndmask_b32 v2, v2, v14
	v_cmp_le_u32_e32 vcc_lo, s28, v13
	s_delay_alu instid0(VALU_DEP_2) | instskip(SKIP_1) | instid1(VALU_DEP_1)
	v_add_nc_u32_e32 v14, 1, v2
	s_wait_alu 0xfffd
	v_dual_cndmask_b32 v13, v2, v14 :: v_dual_mov_b32 v14, v1
.LBB51_20:                              ;   in Loop: Header=BB51_4 Depth=1
	s_wait_alu 0xfffe
	s_or_b32 exec_lo, exec_lo, s6
	v_or_b32_e32 v2, s29, v12
                                        ; implicit-def: $vgpr15_vgpr16
	s_mov_b32 s6, exec_lo
	s_delay_alu instid0(VALU_DEP_1)
	v_cmpx_ne_u64_e32 0, v[1:2]
	s_wait_alu 0xfffe
	s_xor_b32 s37, exec_lo, s6
	s_cbranch_execnz .LBB51_26
; %bb.21:                               ;   in Loop: Header=BB51_4 Depth=1
	s_wait_alu 0xfffe
	s_and_not1_saveexec_b32 s6, s37
	s_cbranch_execnz .LBB51_27
.LBB51_22:                              ;   in Loop: Header=BB51_4 Depth=1
	s_wait_alu 0xfffe
	s_or_b32 exec_lo, exec_lo, s6
	s_and_saveexec_b32 s37, s5
	s_cbranch_execnz .LBB51_28
.LBB51_23:                              ;   in Loop: Header=BB51_4 Depth=1
	s_wait_alu 0xfffe
	s_or_b32 exec_lo, exec_lo, s37
	s_and_saveexec_b32 s5, s2
	s_cbranch_execnz .LBB51_33
.LBB51_24:                              ;   in Loop: Header=BB51_4 Depth=1
	s_wait_alu 0xfffe
	s_or_b32 exec_lo, exec_lo, s5
	s_and_saveexec_b32 s2, s3
	s_cbranch_execnz .LBB51_34
.LBB51_25:                              ;   in Loop: Header=BB51_4 Depth=1
	s_wait_alu 0xfffe
	s_or_b32 exec_lo, exec_lo, s2
	s_and_saveexec_b32 s2, s4
	s_cbranch_execz .LBB51_3
	s_branch .LBB51_35
.LBB51_26:                              ;   in Loop: Header=BB51_4 Depth=1
	s_ashr_i32 s30, s29, 31
	v_ashrrev_i32_e32 v2, 31, v12
	s_wait_alu 0xfffe
	s_mov_b32 s31, s30
	s_wait_alu 0xfffe
	s_add_nc_u64 s[34:35], s[28:29], s[30:31]
	v_add_co_u32 v11, vcc_lo, v11, v2
	s_wait_alu 0xfffe
	s_xor_b64 s[34:35], s[34:35], s[30:31]
	s_wait_alu 0xfffd
	v_add_co_ci_u32_e64 v12, null, v12, v2, vcc_lo
	s_wait_alu 0xfffe
	s_cvt_f32_u32 s6, s34
	s_cvt_f32_u32 s31, s35
	s_sub_nc_u64 s[40:41], 0, s[34:35]
	v_xor_b32_e32 v25, v11, v2
	v_xor_b32_e32 v26, v12, v2
	s_wait_alu 0xfffe
	s_fmamk_f32 s6, s31, 0x4f800000, s6
	v_xor_b32_e32 v2, s30, v2
	s_wait_alu 0xfffe
	s_delay_alu instid0(SALU_CYCLE_1) | instskip(NEXT) | instid1(TRANS32_DEP_1)
	v_s_rcp_f32 s6, s6
	s_mul_f32 s6, s6, 0x5f7ffffc
	s_wait_alu 0xfffe
	s_delay_alu instid0(SALU_CYCLE_2) | instskip(SKIP_1) | instid1(SALU_CYCLE_2)
	s_mul_f32 s31, s6, 0x2f800000
	s_wait_alu 0xfffe
	s_trunc_f32 s31, s31
	s_wait_alu 0xfffe
	s_delay_alu instid0(SALU_CYCLE_2) | instskip(SKIP_2) | instid1(SALU_CYCLE_1)
	s_fmamk_f32 s6, s31, 0xcf800000, s6
	s_cvt_u32_f32 s39, s31
	s_wait_alu 0xfffe
	s_cvt_u32_f32 s38, s6
	s_delay_alu instid0(SALU_CYCLE_3) | instskip(NEXT) | instid1(SALU_CYCLE_1)
	s_mul_u64 s[42:43], s[40:41], s[38:39]
	s_mul_hi_u32 s45, s38, s43
	s_mul_i32 s44, s38, s43
	s_mul_hi_u32 s6, s38, s42
	s_mul_i32 s46, s39, s42
	s_wait_alu 0xfffe
	s_add_nc_u64 s[44:45], s[6:7], s[44:45]
	s_mul_hi_u32 s31, s39, s42
	s_mul_hi_u32 s47, s39, s43
	s_add_co_u32 s6, s44, s46
	s_wait_alu 0xfffe
	s_add_co_ci_u32 s6, s45, s31
	s_mul_i32 s42, s39, s43
	s_add_co_ci_u32 s43, s47, 0
	s_wait_alu 0xfffe
	s_add_nc_u64 s[42:43], s[6:7], s[42:43]
	s_delay_alu instid0(SALU_CYCLE_1) | instskip(SKIP_4) | instid1(SALU_CYCLE_1)
	s_add_co_u32 s38, s38, s42
	s_cselect_b32 s6, -1, 0
	s_wait_alu 0xfffe
	s_cmp_lg_u32 s6, 0
	s_add_co_ci_u32 s39, s39, s43
	s_mul_u64 s[40:41], s[40:41], s[38:39]
	s_delay_alu instid0(SALU_CYCLE_1)
	s_mul_hi_u32 s43, s38, s41
	s_mul_i32 s42, s38, s41
	s_mul_hi_u32 s6, s38, s40
	s_mul_i32 s44, s39, s40
	s_wait_alu 0xfffe
	s_add_nc_u64 s[42:43], s[6:7], s[42:43]
	s_mul_hi_u32 s31, s39, s40
	s_mul_hi_u32 s45, s39, s41
	s_add_co_u32 s6, s42, s44
	s_wait_alu 0xfffe
	s_add_co_ci_u32 s6, s43, s31
	s_mul_i32 s40, s39, s41
	s_add_co_ci_u32 s41, s45, 0
	s_wait_alu 0xfffe
	s_add_nc_u64 s[40:41], s[6:7], s[40:41]
	s_delay_alu instid0(SALU_CYCLE_1)
	s_add_co_u32 s6, s38, s40
	s_cselect_b32 s31, -1, 0
	s_wait_alu 0xfffe
	v_mul_hi_u32 v27, v25, s6
	s_cmp_lg_u32 s31, 0
	v_mad_co_u64_u32 v[15:16], null, v26, s6, 0
	s_add_co_ci_u32 s31, s39, s41
	s_wait_alu 0xfffe
	v_mad_co_u64_u32 v[11:12], null, v25, s31, 0
	v_mad_co_u64_u32 v[23:24], null, v26, s31, 0
	s_delay_alu instid0(VALU_DEP_2) | instskip(SKIP_1) | instid1(VALU_DEP_3)
	v_add_co_u32 v11, vcc_lo, v27, v11
	s_wait_alu 0xfffd
	v_add_co_ci_u32_e64 v12, null, 0, v12, vcc_lo
	s_delay_alu instid0(VALU_DEP_2) | instskip(SKIP_1) | instid1(VALU_DEP_2)
	v_add_co_u32 v11, vcc_lo, v11, v15
	s_wait_alu 0xfffd
	v_add_co_ci_u32_e32 v11, vcc_lo, v12, v16, vcc_lo
	s_wait_alu 0xfffd
	v_add_co_ci_u32_e32 v12, vcc_lo, 0, v24, vcc_lo
	s_delay_alu instid0(VALU_DEP_2) | instskip(SKIP_1) | instid1(VALU_DEP_2)
	v_add_co_u32 v15, vcc_lo, v11, v23
	s_wait_alu 0xfffd
	v_add_co_ci_u32_e64 v16, null, 0, v12, vcc_lo
	s_delay_alu instid0(VALU_DEP_2) | instskip(SKIP_1) | instid1(VALU_DEP_3)
	v_mul_lo_u32 v23, s35, v15
	v_mad_co_u64_u32 v[11:12], null, s34, v15, 0
	v_mul_lo_u32 v24, s34, v16
	s_delay_alu instid0(VALU_DEP_2) | instskip(NEXT) | instid1(VALU_DEP_2)
	v_sub_co_u32 v11, vcc_lo, v25, v11
	v_add3_u32 v12, v12, v24, v23
	v_add_co_u32 v24, s6, v15, 2
	s_wait_alu 0xf1ff
	v_add_co_ci_u32_e64 v25, null, 0, v16, s6
	s_delay_alu instid0(VALU_DEP_3) | instskip(SKIP_3) | instid1(VALU_DEP_3)
	v_sub_nc_u32_e32 v23, v26, v12
	v_sub_co_u32 v27, s6, v11, s34
	s_wait_alu 0xfffd
	v_sub_co_ci_u32_e64 v12, null, v26, v12, vcc_lo
	v_subrev_co_ci_u32_e64 v23, null, s35, v23, vcc_lo
	s_delay_alu instid0(VALU_DEP_3) | instskip(SKIP_1) | instid1(VALU_DEP_2)
	v_cmp_le_u32_e32 vcc_lo, s34, v27
	s_wait_alu 0xf1ff
	v_subrev_co_ci_u32_e64 v23, null, 0, v23, s6
	s_wait_alu 0xfffd
	v_cndmask_b32_e64 v26, 0, -1, vcc_lo
	s_delay_alu instid0(VALU_DEP_2)
	v_cmp_le_u32_e32 vcc_lo, s35, v23
	s_wait_alu 0xfffd
	v_cndmask_b32_e64 v27, 0, -1, vcc_lo
	v_cmp_le_u32_e32 vcc_lo, s34, v11
	s_wait_alu 0xfffd
	v_cndmask_b32_e64 v11, 0, -1, vcc_lo
	;; [unrolled: 3-line block ×3, first 2 shown]
	v_cmp_eq_u32_e32 vcc_lo, s35, v23
	s_wait_alu 0xfffd
	v_cndmask_b32_e32 v23, v27, v26, vcc_lo
	v_add_co_u32 v26, vcc_lo, v15, 1
	s_wait_alu 0xfffd
	v_add_co_ci_u32_e64 v27, null, 0, v16, vcc_lo
	v_cmp_eq_u32_e32 vcc_lo, s35, v12
	s_wait_alu 0xfffd
	v_cndmask_b32_e32 v11, v28, v11, vcc_lo
	v_cmp_ne_u32_e32 vcc_lo, 0, v23
	s_wait_alu 0xfffd
	v_cndmask_b32_e32 v12, v27, v25, vcc_lo
	s_delay_alu instid0(VALU_DEP_3) | instskip(SKIP_2) | instid1(VALU_DEP_2)
	v_cmp_ne_u32_e64 s6, 0, v11
	v_cndmask_b32_e32 v11, v26, v24, vcc_lo
	s_wait_alu 0xf1ff
	v_cndmask_b32_e64 v12, v16, v12, s6
	s_delay_alu instid0(VALU_DEP_2) | instskip(NEXT) | instid1(VALU_DEP_2)
	v_cndmask_b32_e64 v11, v15, v11, s6
	v_xor_b32_e32 v12, v12, v2
	s_delay_alu instid0(VALU_DEP_2) | instskip(NEXT) | instid1(VALU_DEP_1)
	v_xor_b32_e32 v11, v11, v2
	v_sub_co_u32 v15, vcc_lo, v11, v2
	s_wait_alu 0xfffd
	s_delay_alu instid0(VALU_DEP_3)
	v_sub_co_ci_u32_e64 v16, null, v12, v2, vcc_lo
                                        ; implicit-def: $vgpr11_vgpr12
	s_and_not1_saveexec_b32 s6, s37
	s_cbranch_execz .LBB51_22
.LBB51_27:                              ;   in Loop: Header=BB51_4 Depth=1
	v_cvt_f32_u32_e32 v2, s28
	s_sub_co_i32 s30, 0, s28
	v_mov_b32_e32 v16, v1
	s_delay_alu instid0(VALU_DEP_2) | instskip(NEXT) | instid1(TRANS32_DEP_1)
	v_rcp_iflag_f32_e32 v2, v2
	v_mul_f32_e32 v2, 0x4f7ffffe, v2
	s_delay_alu instid0(VALU_DEP_1) | instskip(SKIP_1) | instid1(VALU_DEP_1)
	v_cvt_u32_f32_e32 v2, v2
	s_wait_alu 0xfffe
	v_mul_lo_u32 v12, s30, v2
	s_delay_alu instid0(VALU_DEP_1) | instskip(NEXT) | instid1(VALU_DEP_1)
	v_mul_hi_u32 v12, v2, v12
	v_add_nc_u32_e32 v2, v2, v12
	s_delay_alu instid0(VALU_DEP_1) | instskip(NEXT) | instid1(VALU_DEP_1)
	v_mul_hi_u32 v2, v11, v2
	v_mul_lo_u32 v12, v2, s28
	s_delay_alu instid0(VALU_DEP_1) | instskip(SKIP_1) | instid1(VALU_DEP_2)
	v_sub_nc_u32_e32 v11, v11, v12
	v_add_nc_u32_e32 v12, 1, v2
	v_subrev_nc_u32_e32 v15, s28, v11
	v_cmp_le_u32_e32 vcc_lo, s28, v11
	s_wait_alu 0xfffd
	s_delay_alu instid0(VALU_DEP_2) | instskip(NEXT) | instid1(VALU_DEP_1)
	v_dual_cndmask_b32 v11, v11, v15 :: v_dual_cndmask_b32 v2, v2, v12
	v_cmp_le_u32_e32 vcc_lo, s28, v11
	s_delay_alu instid0(VALU_DEP_2) | instskip(SKIP_1) | instid1(VALU_DEP_1)
	v_add_nc_u32_e32 v12, 1, v2
	s_wait_alu 0xfffd
	v_cndmask_b32_e32 v15, v2, v12, vcc_lo
	s_or_b32 exec_lo, exec_lo, s6
	s_and_saveexec_b32 s37, s5
	s_cbranch_execz .LBB51_23
.LBB51_28:                              ;   in Loop: Header=BB51_4 Depth=1
	v_or_b32_e32 v2, s29, v8
                                        ; implicit-def: $vgpr11_vgpr12
	s_mov_b32 s5, exec_lo
	s_delay_alu instid0(VALU_DEP_1)
	v_cmpx_ne_u64_e32 0, v[1:2]
	s_wait_alu 0xfffe
	s_xor_b32 s38, exec_lo, s5
	s_cbranch_execz .LBB51_30
; %bb.29:                               ;   in Loop: Header=BB51_4 Depth=1
	s_ashr_i32 s30, s29, 31
	v_ashrrev_i32_e32 v2, 31, v8
	s_wait_alu 0xfffe
	s_mov_b32 s31, s30
	s_wait_alu 0xfffe
	s_add_nc_u64 s[34:35], s[28:29], s[30:31]
	v_add_co_u32 v7, vcc_lo, v7, v2
	s_wait_alu 0xfffe
	s_xor_b64 s[34:35], s[34:35], s[30:31]
	s_wait_alu 0xfffd
	v_add_co_ci_u32_e64 v8, null, v8, v2, vcc_lo
	s_wait_alu 0xfffe
	s_cvt_f32_u32 s5, s34
	s_cvt_f32_u32 s6, s35
	s_sub_nc_u64 s[42:43], 0, s[34:35]
	v_xor_b32_e32 v25, v7, v2
	v_xor_b32_e32 v26, v8, v2
	s_wait_alu 0xfffe
	s_fmamk_f32 s5, s6, 0x4f800000, s5
	v_xor_b32_e32 v2, s30, v2
	s_wait_alu 0xfffe
	s_delay_alu instid0(SALU_CYCLE_1) | instskip(NEXT) | instid1(TRANS32_DEP_1)
	v_s_rcp_f32 s5, s5
	s_mul_f32 s5, s5, 0x5f7ffffc
	s_wait_alu 0xfffe
	s_delay_alu instid0(SALU_CYCLE_2) | instskip(SKIP_1) | instid1(SALU_CYCLE_2)
	s_mul_f32 s6, s5, 0x2f800000
	s_wait_alu 0xfffe
	s_trunc_f32 s6, s6
	s_wait_alu 0xfffe
	s_delay_alu instid0(SALU_CYCLE_2) | instskip(SKIP_2) | instid1(SALU_CYCLE_1)
	s_fmamk_f32 s5, s6, 0xcf800000, s5
	s_cvt_u32_f32 s41, s6
	s_wait_alu 0xfffe
	s_cvt_u32_f32 s40, s5
	s_delay_alu instid0(SALU_CYCLE_3) | instskip(NEXT) | instid1(SALU_CYCLE_1)
	s_mul_u64 s[44:45], s[42:43], s[40:41]
	s_mul_hi_u32 s47, s40, s45
	s_mul_i32 s46, s40, s45
	s_mul_hi_u32 s6, s40, s44
	s_mul_i32 s29, s41, s44
	s_wait_alu 0xfffe
	s_add_nc_u64 s[46:47], s[6:7], s[46:47]
	s_mul_hi_u32 s5, s41, s44
	s_mul_hi_u32 s31, s41, s45
	s_add_co_u32 s6, s46, s29
	s_wait_alu 0xfffe
	s_add_co_ci_u32 s6, s47, s5
	s_mul_i32 s44, s41, s45
	s_add_co_ci_u32 s45, s31, 0
	s_wait_alu 0xfffe
	s_add_nc_u64 s[44:45], s[6:7], s[44:45]
	s_delay_alu instid0(SALU_CYCLE_1) | instskip(SKIP_4) | instid1(SALU_CYCLE_1)
	s_add_co_u32 s40, s40, s44
	s_cselect_b32 s5, -1, 0
	s_wait_alu 0xfffe
	s_cmp_lg_u32 s5, 0
	s_add_co_ci_u32 s41, s41, s45
	s_mul_u64 s[42:43], s[42:43], s[40:41]
	s_delay_alu instid0(SALU_CYCLE_1)
	s_mul_hi_u32 s45, s40, s43
	s_mul_i32 s44, s40, s43
	s_mul_hi_u32 s6, s40, s42
	s_mul_i32 s29, s41, s42
	s_wait_alu 0xfffe
	s_add_nc_u64 s[44:45], s[6:7], s[44:45]
	s_mul_hi_u32 s5, s41, s42
	s_mul_hi_u32 s31, s41, s43
	s_add_co_u32 s6, s44, s29
	s_wait_alu 0xfffe
	s_add_co_ci_u32 s6, s45, s5
	s_mul_i32 s42, s41, s43
	s_add_co_ci_u32 s43, s31, 0
	s_wait_alu 0xfffe
	s_add_nc_u64 s[42:43], s[6:7], s[42:43]
	s_delay_alu instid0(SALU_CYCLE_1)
	s_add_co_u32 s5, s40, s42
	s_cselect_b32 s6, -1, 0
	s_wait_alu 0xfffe
	v_mul_hi_u32 v27, v25, s5
	s_cmp_lg_u32 s6, 0
	v_mad_co_u64_u32 v[11:12], null, v26, s5, 0
	s_add_co_ci_u32 s6, s41, s43
	s_wait_alu 0xfffe
	v_mad_co_u64_u32 v[7:8], null, v25, s6, 0
	v_mad_co_u64_u32 v[23:24], null, v26, s6, 0
	s_delay_alu instid0(VALU_DEP_2) | instskip(SKIP_1) | instid1(VALU_DEP_3)
	v_add_co_u32 v7, vcc_lo, v27, v7
	s_wait_alu 0xfffd
	v_add_co_ci_u32_e64 v8, null, 0, v8, vcc_lo
	s_delay_alu instid0(VALU_DEP_2) | instskip(SKIP_1) | instid1(VALU_DEP_2)
	v_add_co_u32 v7, vcc_lo, v7, v11
	s_wait_alu 0xfffd
	v_add_co_ci_u32_e32 v7, vcc_lo, v8, v12, vcc_lo
	s_wait_alu 0xfffd
	v_add_co_ci_u32_e32 v8, vcc_lo, 0, v24, vcc_lo
	s_delay_alu instid0(VALU_DEP_2) | instskip(SKIP_1) | instid1(VALU_DEP_2)
	v_add_co_u32 v11, vcc_lo, v7, v23
	s_wait_alu 0xfffd
	v_add_co_ci_u32_e64 v12, null, 0, v8, vcc_lo
	s_delay_alu instid0(VALU_DEP_2) | instskip(SKIP_1) | instid1(VALU_DEP_3)
	v_mul_lo_u32 v23, s35, v11
	v_mad_co_u64_u32 v[7:8], null, s34, v11, 0
	v_mul_lo_u32 v24, s34, v12
	s_delay_alu instid0(VALU_DEP_2) | instskip(NEXT) | instid1(VALU_DEP_2)
	v_sub_co_u32 v7, vcc_lo, v25, v7
	v_add3_u32 v8, v8, v24, v23
	v_add_co_u32 v24, s5, v11, 2
	s_wait_alu 0xf1ff
	v_add_co_ci_u32_e64 v25, null, 0, v12, s5
	s_delay_alu instid0(VALU_DEP_3) | instskip(SKIP_3) | instid1(VALU_DEP_3)
	v_sub_nc_u32_e32 v23, v26, v8
	v_sub_co_u32 v27, s5, v7, s34
	s_wait_alu 0xfffd
	v_sub_co_ci_u32_e64 v8, null, v26, v8, vcc_lo
	v_subrev_co_ci_u32_e64 v23, null, s35, v23, vcc_lo
	s_delay_alu instid0(VALU_DEP_3) | instskip(SKIP_1) | instid1(VALU_DEP_2)
	v_cmp_le_u32_e32 vcc_lo, s34, v27
	s_wait_alu 0xf1ff
	v_subrev_co_ci_u32_e64 v23, null, 0, v23, s5
	s_wait_alu 0xfffd
	v_cndmask_b32_e64 v26, 0, -1, vcc_lo
	s_delay_alu instid0(VALU_DEP_2)
	v_cmp_le_u32_e32 vcc_lo, s35, v23
	s_wait_alu 0xfffd
	v_cndmask_b32_e64 v27, 0, -1, vcc_lo
	v_cmp_le_u32_e32 vcc_lo, s34, v7
	s_wait_alu 0xfffd
	v_cndmask_b32_e64 v7, 0, -1, vcc_lo
	;; [unrolled: 3-line block ×3, first 2 shown]
	v_cmp_eq_u32_e32 vcc_lo, s35, v23
	s_wait_alu 0xfffd
	v_cndmask_b32_e32 v23, v27, v26, vcc_lo
	v_add_co_u32 v26, vcc_lo, v11, 1
	s_wait_alu 0xfffd
	v_add_co_ci_u32_e64 v27, null, 0, v12, vcc_lo
	v_cmp_eq_u32_e32 vcc_lo, s35, v8
	s_wait_alu 0xfffd
	v_cndmask_b32_e32 v7, v28, v7, vcc_lo
	v_cmp_ne_u32_e32 vcc_lo, 0, v23
	s_wait_alu 0xfffd
	v_cndmask_b32_e32 v8, v27, v25, vcc_lo
	s_delay_alu instid0(VALU_DEP_3) | instskip(SKIP_2) | instid1(VALU_DEP_2)
	v_cmp_ne_u32_e64 s5, 0, v7
	v_cndmask_b32_e32 v7, v26, v24, vcc_lo
	s_wait_alu 0xf1ff
	v_cndmask_b32_e64 v8, v12, v8, s5
	s_delay_alu instid0(VALU_DEP_2) | instskip(NEXT) | instid1(VALU_DEP_2)
	v_cndmask_b32_e64 v7, v11, v7, s5
	v_xor_b32_e32 v8, v8, v2
	s_delay_alu instid0(VALU_DEP_2) | instskip(NEXT) | instid1(VALU_DEP_1)
	v_xor_b32_e32 v7, v7, v2
	v_sub_co_u32 v11, vcc_lo, v7, v2
	s_wait_alu 0xfffd
	s_delay_alu instid0(VALU_DEP_3)
	v_sub_co_ci_u32_e64 v12, null, v8, v2, vcc_lo
                                        ; implicit-def: $vgpr7_vgpr8
.LBB51_30:                              ;   in Loop: Header=BB51_4 Depth=1
	s_and_not1_saveexec_b32 s5, s38
	s_cbranch_execz .LBB51_32
; %bb.31:                               ;   in Loop: Header=BB51_4 Depth=1
	v_cvt_f32_u32_e32 v2, s28
	s_sub_co_i32 s6, 0, s28
	v_mov_b32_e32 v12, v1
	s_delay_alu instid0(VALU_DEP_2) | instskip(NEXT) | instid1(TRANS32_DEP_1)
	v_rcp_iflag_f32_e32 v2, v2
	v_mul_f32_e32 v2, 0x4f7ffffe, v2
	s_delay_alu instid0(VALU_DEP_1) | instskip(SKIP_1) | instid1(VALU_DEP_1)
	v_cvt_u32_f32_e32 v2, v2
	s_wait_alu 0xfffe
	v_mul_lo_u32 v8, s6, v2
	s_delay_alu instid0(VALU_DEP_1) | instskip(NEXT) | instid1(VALU_DEP_1)
	v_mul_hi_u32 v8, v2, v8
	v_add_nc_u32_e32 v2, v2, v8
	s_delay_alu instid0(VALU_DEP_1) | instskip(NEXT) | instid1(VALU_DEP_1)
	v_mul_hi_u32 v2, v7, v2
	v_mul_lo_u32 v8, v2, s28
	s_delay_alu instid0(VALU_DEP_1) | instskip(SKIP_1) | instid1(VALU_DEP_2)
	v_sub_nc_u32_e32 v7, v7, v8
	v_add_nc_u32_e32 v8, 1, v2
	v_subrev_nc_u32_e32 v11, s28, v7
	v_cmp_le_u32_e32 vcc_lo, s28, v7
	s_wait_alu 0xfffd
	s_delay_alu instid0(VALU_DEP_2) | instskip(NEXT) | instid1(VALU_DEP_1)
	v_dual_cndmask_b32 v7, v7, v11 :: v_dual_cndmask_b32 v2, v2, v8
	v_cmp_le_u32_e32 vcc_lo, s28, v7
	s_delay_alu instid0(VALU_DEP_2) | instskip(SKIP_1) | instid1(VALU_DEP_1)
	v_add_nc_u32_e32 v8, 1, v2
	s_wait_alu 0xfffd
	v_cndmask_b32_e32 v11, v2, v8, vcc_lo
.LBB51_32:                              ;   in Loop: Header=BB51_4 Depth=1
	s_wait_alu 0xfffe
	s_or_b32 exec_lo, exec_lo, s5
	global_store_b64 v[3:4], v[11:12], off
	s_or_b32 exec_lo, exec_lo, s37
	s_and_saveexec_b32 s5, s2
	s_cbranch_execz .LBB51_24
.LBB51_33:                              ;   in Loop: Header=BB51_4 Depth=1
	global_store_b64 v[5:6], v[9:10], off
	s_wait_alu 0xfffe
	s_or_b32 exec_lo, exec_lo, s5
	s_and_saveexec_b32 s2, s3
	s_cbranch_execz .LBB51_25
.LBB51_34:                              ;   in Loop: Header=BB51_4 Depth=1
	v_add_co_u32 v7, vcc_lo, v3, s36
	s_wait_alu 0xfffd
	v_add_co_ci_u32_e64 v8, null, 0, v4, vcc_lo
	global_store_b64 v[7:8], v[13:14], off
	s_wait_alu 0xfffe
	s_or_b32 exec_lo, exec_lo, s2
	s_and_saveexec_b32 s2, s4
	s_cbranch_execz .LBB51_3
.LBB51_35:                              ;   in Loop: Header=BB51_4 Depth=1
	v_add_co_u32 v7, vcc_lo, v3, s24
	s_wait_alu 0xfffd
	v_add_co_ci_u32_e64 v8, null, s25, v4, vcc_lo
	global_store_b64 v[7:8], v[15:16], off
	s_branch .LBB51_3
.LBB51_36:
	s_cbranch_execz .LBB51_38
	s_branch .LBB51_57
.LBB51_37:
.LBB51_38:
	v_dual_mov_b32 v14, 0 :: v_dual_lshlrev_b32 v1, 2, v0
	v_cmp_gt_i64_e64 s2, 0x10000, s[16:17]
	s_mov_b32 s5, 0
	s_mov_b32 s4, exec_lo
	v_mov_b32_e32 v2, v14
	s_and_b32 s2, s2, exec_lo
	s_cselect_b32 s3, s17, 0
	s_cselect_b32 s2, s16, 0x10000
	s_wait_alu 0xfffe
	v_cmpx_gt_i64_e64 s[2:3], v[1:2]
	s_cbranch_execz .LBB51_57
; %bb.39:
	s_load_b32 s4, s[0:1], 0xd4c
	v_lshlrev_b32_e32 v1, 5, v0
	s_add_nc_u64 s[0:1], s[12:13], s[14:15]
	s_mov_b32 s17, 0
	s_delay_alu instid0(VALU_DEP_1) | instskip(SKIP_3) | instid1(VALU_DEP_3)
	v_add_co_u32 v2, s0, s0, v1
	s_wait_alu 0xf1ff
	v_add_co_ci_u32_e64 v3, null, s1, 0, s0
	v_mov_b32_e32 v1, v14
	v_add_co_u32 v16, vcc_lo, v2, 16
	s_wait_alu 0xfffd
	s_delay_alu instid0(VALU_DEP_3)
	v_add_co_ci_u32_e64 v17, null, 0, v3, vcc_lo
	s_wait_kmcnt 0x0
	s_and_b32 s1, s4, 0xffff
	s_wait_alu 0xfffe
	s_lshl_b32 s16, s1, 5
	s_branch .LBB51_41
.LBB51_40:                              ;   in Loop: Header=BB51_41 Depth=1
	s_wait_alu 0xfffe
	s_or_b32 exec_lo, exec_lo, s0
	v_add_co_u32 v0, vcc_lo, v0, s1
	s_wait_alu 0xfffd
	v_add_co_ci_u32_e64 v1, null, 0, v1, vcc_lo
	s_clause 0x1
	global_store_b128 v[16:17], v[6:9], off offset:-16
	global_store_b128 v[16:17], v[10:13], off
	v_add_co_u32 v16, s0, v16, s16
	v_lshlrev_b64_e32 v[2:3], 2, v[0:1]
	s_wait_alu 0xf1ff
	v_add_co_ci_u32_e64 v17, null, 0, v17, s0
	s_delay_alu instid0(VALU_DEP_2)
	v_cmp_le_i64_e32 vcc_lo, s[2:3], v[2:3]
	s_or_b32 s17, vcc_lo, s17
	s_wait_alu 0xfffe
	s_and_not1_b32 exec_lo, exec_lo, s17
	s_cbranch_execz .LBB51_57
.LBB51_41:                              ; =>This Inner Loop Header: Depth=1
	global_load_b64 v[6:7], v14, s[8:9]
	s_clause 0x1
	global_load_b128 v[8:11], v[16:17], off offset:-16
	global_load_b128 v[2:5], v[16:17], off
	s_mov_b32 s0, exec_lo
	s_wait_loadcnt 0x2
	v_readfirstlane_b32 s6, v6
	v_readfirstlane_b32 s7, v7
                                        ; implicit-def: $vgpr6_vgpr7
	s_mul_u64 s[6:7], s[6:7], s[10:11]
	s_wait_loadcnt 0x1
	s_wait_alu 0xfffe
	v_or_b32_e32 v15, s7, v9
	s_delay_alu instid0(VALU_DEP_1)
	v_cmpx_ne_u64_e32 0, v[14:15]
	s_xor_b32 s18, exec_lo, s0
	s_cbranch_execz .LBB51_43
; %bb.42:                               ;   in Loop: Header=BB51_41 Depth=1
	s_ashr_i32 s12, s7, 31
	v_ashrrev_i32_e32 v15, 31, v9
	s_wait_alu 0xfffe
	s_mov_b32 s13, s12
	s_wait_alu 0xfffe
	s_add_nc_u64 s[14:15], s[6:7], s[12:13]
	v_add_co_u32 v6, vcc_lo, v8, v15
	s_wait_alu 0xfffe
	s_xor_b64 s[14:15], s[14:15], s[12:13]
	s_wait_alu 0xfffd
	v_add_co_ci_u32_e64 v7, null, v9, v15, vcc_lo
	s_wait_alu 0xfffe
	s_cvt_f32_u32 s0, s14
	s_cvt_f32_u32 s4, s15
	s_sub_nc_u64 s[22:23], 0, s[14:15]
	v_xor_b32_e32 v18, v6, v15
	v_xor_b32_e32 v19, v7, v15
	s_wait_alu 0xfffe
	s_fmamk_f32 s0, s4, 0x4f800000, s0
	s_wait_alu 0xfffe
	s_delay_alu instid0(SALU_CYCLE_2) | instskip(NEXT) | instid1(TRANS32_DEP_1)
	v_s_rcp_f32 s0, s0
	s_mul_f32 s0, s0, 0x5f7ffffc
	s_wait_alu 0xfffe
	s_delay_alu instid0(SALU_CYCLE_2) | instskip(SKIP_1) | instid1(SALU_CYCLE_2)
	s_mul_f32 s4, s0, 0x2f800000
	s_wait_alu 0xfffe
	s_trunc_f32 s4, s4
	s_wait_alu 0xfffe
	s_delay_alu instid0(SALU_CYCLE_2) | instskip(SKIP_2) | instid1(SALU_CYCLE_1)
	s_fmamk_f32 s0, s4, 0xcf800000, s0
	s_cvt_u32_f32 s21, s4
	s_wait_alu 0xfffe
	s_cvt_u32_f32 s20, s0
	s_wait_alu 0xfffe
	s_delay_alu instid0(SALU_CYCLE_2)
	s_mul_u64 s[24:25], s[22:23], s[20:21]
	s_wait_alu 0xfffe
	s_mul_hi_u32 s27, s20, s25
	s_mul_i32 s26, s20, s25
	s_mul_hi_u32 s4, s20, s24
	s_mul_i32 s13, s21, s24
	s_wait_alu 0xfffe
	s_add_nc_u64 s[26:27], s[4:5], s[26:27]
	s_mul_hi_u32 s0, s21, s24
	s_mul_hi_u32 s19, s21, s25
	s_wait_alu 0xfffe
	s_add_co_u32 s4, s26, s13
	s_add_co_ci_u32 s4, s27, s0
	s_mul_i32 s24, s21, s25
	s_add_co_ci_u32 s25, s19, 0
	s_wait_alu 0xfffe
	s_add_nc_u64 s[24:25], s[4:5], s[24:25]
	s_wait_alu 0xfffe
	s_add_co_u32 s20, s20, s24
	s_cselect_b32 s0, -1, 0
	s_wait_alu 0xfffe
	s_cmp_lg_u32 s0, 0
	s_add_co_ci_u32 s21, s21, s25
	s_wait_alu 0xfffe
	s_mul_u64 s[22:23], s[22:23], s[20:21]
	s_wait_alu 0xfffe
	s_mul_hi_u32 s25, s20, s23
	s_mul_i32 s24, s20, s23
	s_mul_hi_u32 s4, s20, s22
	s_mul_i32 s13, s21, s22
	s_wait_alu 0xfffe
	s_add_nc_u64 s[24:25], s[4:5], s[24:25]
	s_mul_hi_u32 s0, s21, s22
	s_mul_hi_u32 s19, s21, s23
	s_wait_alu 0xfffe
	s_add_co_u32 s4, s24, s13
	s_add_co_ci_u32 s4, s25, s0
	s_mul_i32 s22, s21, s23
	s_add_co_ci_u32 s23, s19, 0
	s_wait_alu 0xfffe
	s_add_nc_u64 s[22:23], s[4:5], s[22:23]
	s_wait_alu 0xfffe
	s_add_co_u32 s0, s20, s22
	s_cselect_b32 s4, -1, 0
	s_wait_alu 0xfffe
	v_mul_hi_u32 v20, v18, s0
	s_cmp_lg_u32 s4, 0
	v_mad_co_u64_u32 v[8:9], null, v19, s0, 0
	s_add_co_ci_u32 s4, s21, s23
	s_wait_alu 0xfffe
	v_mad_co_u64_u32 v[6:7], null, v18, s4, 0
	v_mad_co_u64_u32 v[12:13], null, v19, s4, 0
	s_delay_alu instid0(VALU_DEP_2) | instskip(SKIP_1) | instid1(VALU_DEP_3)
	v_add_co_u32 v6, vcc_lo, v20, v6
	s_wait_alu 0xfffd
	v_add_co_ci_u32_e64 v7, null, 0, v7, vcc_lo
	s_delay_alu instid0(VALU_DEP_2) | instskip(SKIP_1) | instid1(VALU_DEP_2)
	v_add_co_u32 v6, vcc_lo, v6, v8
	s_wait_alu 0xfffd
	v_add_co_ci_u32_e32 v6, vcc_lo, v7, v9, vcc_lo
	s_wait_alu 0xfffd
	v_add_co_ci_u32_e32 v7, vcc_lo, 0, v13, vcc_lo
	s_delay_alu instid0(VALU_DEP_2) | instskip(SKIP_1) | instid1(VALU_DEP_2)
	v_add_co_u32 v8, vcc_lo, v6, v12
	s_wait_alu 0xfffd
	v_add_co_ci_u32_e64 v9, null, 0, v7, vcc_lo
	s_delay_alu instid0(VALU_DEP_2) | instskip(SKIP_1) | instid1(VALU_DEP_3)
	v_mul_lo_u32 v12, s15, v8
	v_mad_co_u64_u32 v[6:7], null, s14, v8, 0
	v_mul_lo_u32 v13, s14, v9
	s_delay_alu instid0(VALU_DEP_2) | instskip(NEXT) | instid1(VALU_DEP_2)
	v_sub_co_u32 v6, vcc_lo, v18, v6
	v_add3_u32 v7, v7, v13, v12
	v_add_co_u32 v13, s0, v8, 2
	s_wait_alu 0xf1ff
	v_add_co_ci_u32_e64 v18, null, 0, v9, s0
	s_delay_alu instid0(VALU_DEP_3) | instskip(SKIP_3) | instid1(VALU_DEP_3)
	v_sub_nc_u32_e32 v12, v19, v7
	v_sub_co_u32 v20, s0, v6, s14
	s_wait_alu 0xfffd
	v_sub_co_ci_u32_e64 v7, null, v19, v7, vcc_lo
	v_subrev_co_ci_u32_e64 v12, null, s15, v12, vcc_lo
	s_delay_alu instid0(VALU_DEP_3) | instskip(SKIP_1) | instid1(VALU_DEP_2)
	v_cmp_le_u32_e32 vcc_lo, s14, v20
	s_wait_alu 0xf1ff
	v_subrev_co_ci_u32_e64 v12, null, 0, v12, s0
	s_wait_alu 0xfffd
	v_cndmask_b32_e64 v19, 0, -1, vcc_lo
	s_delay_alu instid0(VALU_DEP_2)
	v_cmp_le_u32_e32 vcc_lo, s15, v12
	s_wait_alu 0xfffd
	v_cndmask_b32_e64 v20, 0, -1, vcc_lo
	v_cmp_le_u32_e32 vcc_lo, s14, v6
	s_wait_alu 0xfffd
	v_cndmask_b32_e64 v6, 0, -1, vcc_lo
	;; [unrolled: 3-line block ×3, first 2 shown]
	v_cmp_eq_u32_e32 vcc_lo, s15, v12
	s_wait_alu 0xfffd
	v_cndmask_b32_e32 v12, v20, v19, vcc_lo
	v_add_co_u32 v19, vcc_lo, v8, 1
	s_wait_alu 0xfffd
	v_add_co_ci_u32_e64 v20, null, 0, v9, vcc_lo
	v_cmp_eq_u32_e32 vcc_lo, s15, v7
	s_wait_alu 0xfffd
	v_cndmask_b32_e32 v6, v21, v6, vcc_lo
	v_cmp_ne_u32_e32 vcc_lo, 0, v12
	v_xor_b32_e32 v12, s12, v15
	s_delay_alu instid0(VALU_DEP_3) | instskip(SKIP_3) | instid1(VALU_DEP_1)
	v_cmp_ne_u32_e64 s0, 0, v6
	s_wait_alu 0xfffd
	v_dual_cndmask_b32 v7, v20, v18 :: v_dual_cndmask_b32 v6, v19, v13
	s_wait_alu 0xf1ff
	v_cndmask_b32_e64 v7, v9, v7, s0
	s_delay_alu instid0(VALU_DEP_2) | instskip(NEXT) | instid1(VALU_DEP_2)
	v_cndmask_b32_e64 v6, v8, v6, s0
	v_xor_b32_e32 v7, v7, v12
	s_delay_alu instid0(VALU_DEP_2) | instskip(NEXT) | instid1(VALU_DEP_1)
	v_xor_b32_e32 v6, v6, v12
	v_sub_co_u32 v6, vcc_lo, v6, v12
	s_wait_alu 0xfffd
	s_delay_alu instid0(VALU_DEP_3)
	v_sub_co_ci_u32_e64 v7, null, v7, v12, vcc_lo
.LBB51_43:                              ;   in Loop: Header=BB51_41 Depth=1
	s_and_not1_saveexec_b32 s0, s18
	s_cbranch_execz .LBB51_45
; %bb.44:                               ;   in Loop: Header=BB51_41 Depth=1
	v_cvt_f32_u32_e32 v6, s6
	s_sub_co_i32 s4, 0, s6
	s_delay_alu instid0(VALU_DEP_1) | instskip(NEXT) | instid1(TRANS32_DEP_1)
	v_rcp_iflag_f32_e32 v6, v6
	v_mul_f32_e32 v6, 0x4f7ffffe, v6
	s_delay_alu instid0(VALU_DEP_1) | instskip(SKIP_1) | instid1(VALU_DEP_1)
	v_cvt_u32_f32_e32 v6, v6
	s_wait_alu 0xfffe
	v_mul_lo_u32 v7, s4, v6
	s_delay_alu instid0(VALU_DEP_1) | instskip(NEXT) | instid1(VALU_DEP_1)
	v_mul_hi_u32 v7, v6, v7
	v_add_nc_u32_e32 v6, v6, v7
	s_delay_alu instid0(VALU_DEP_1) | instskip(NEXT) | instid1(VALU_DEP_1)
	v_mul_hi_u32 v6, v8, v6
	v_mul_lo_u32 v7, v6, s6
	s_delay_alu instid0(VALU_DEP_1) | instskip(SKIP_1) | instid1(VALU_DEP_2)
	v_sub_nc_u32_e32 v7, v8, v7
	v_add_nc_u32_e32 v8, 1, v6
	v_subrev_nc_u32_e32 v9, s6, v7
	v_cmp_le_u32_e32 vcc_lo, s6, v7
	s_wait_alu 0xfffd
	s_delay_alu instid0(VALU_DEP_2) | instskip(NEXT) | instid1(VALU_DEP_1)
	v_dual_cndmask_b32 v7, v7, v9 :: v_dual_cndmask_b32 v6, v6, v8
	v_cmp_le_u32_e32 vcc_lo, s6, v7
	s_delay_alu instid0(VALU_DEP_2) | instskip(SKIP_1) | instid1(VALU_DEP_1)
	v_dual_mov_b32 v7, v14 :: v_dual_add_nc_u32 v8, 1, v6
	s_wait_alu 0xfffd
	v_cndmask_b32_e32 v6, v6, v8, vcc_lo
.LBB51_45:                              ;   in Loop: Header=BB51_41 Depth=1
	s_wait_alu 0xfffe
	s_or_b32 exec_lo, exec_lo, s0
	v_or_b32_e32 v15, s7, v11
	s_mov_b32 s0, exec_lo
	s_delay_alu instid0(VALU_DEP_1)
	v_cmpx_ne_u64_e32 0, v[14:15]
	s_wait_alu 0xfffe
	s_xor_b32 s18, exec_lo, s0
	s_cbranch_execz .LBB51_47
; %bb.46:                               ;   in Loop: Header=BB51_41 Depth=1
	s_ashr_i32 s12, s7, 31
	v_ashrrev_i32_e32 v15, 31, v11
	s_wait_alu 0xfffe
	s_mov_b32 s13, s12
	s_wait_alu 0xfffe
	s_add_nc_u64 s[14:15], s[6:7], s[12:13]
	v_add_co_u32 v8, vcc_lo, v10, v15
	s_wait_alu 0xfffe
	s_xor_b64 s[14:15], s[14:15], s[12:13]
	s_wait_alu 0xfffd
	v_add_co_ci_u32_e64 v9, null, v11, v15, vcc_lo
	s_wait_alu 0xfffe
	s_cvt_f32_u32 s0, s14
	s_cvt_f32_u32 s4, s15
	s_sub_nc_u64 s[22:23], 0, s[14:15]
	v_xor_b32_e32 v18, v8, v15
	v_xor_b32_e32 v19, v9, v15
	s_wait_alu 0xfffe
	s_fmamk_f32 s0, s4, 0x4f800000, s0
	s_wait_alu 0xfffe
	s_delay_alu instid0(SALU_CYCLE_2) | instskip(NEXT) | instid1(TRANS32_DEP_1)
	v_s_rcp_f32 s0, s0
	s_mul_f32 s0, s0, 0x5f7ffffc
	s_wait_alu 0xfffe
	s_delay_alu instid0(SALU_CYCLE_2) | instskip(SKIP_1) | instid1(SALU_CYCLE_2)
	s_mul_f32 s4, s0, 0x2f800000
	s_wait_alu 0xfffe
	s_trunc_f32 s4, s4
	s_wait_alu 0xfffe
	s_delay_alu instid0(SALU_CYCLE_2) | instskip(SKIP_2) | instid1(SALU_CYCLE_1)
	s_fmamk_f32 s0, s4, 0xcf800000, s0
	s_cvt_u32_f32 s21, s4
	s_wait_alu 0xfffe
	s_cvt_u32_f32 s20, s0
	s_wait_alu 0xfffe
	s_delay_alu instid0(SALU_CYCLE_2)
	s_mul_u64 s[24:25], s[22:23], s[20:21]
	s_wait_alu 0xfffe
	s_mul_hi_u32 s27, s20, s25
	s_mul_i32 s26, s20, s25
	s_mul_hi_u32 s4, s20, s24
	s_mul_i32 s13, s21, s24
	s_wait_alu 0xfffe
	s_add_nc_u64 s[26:27], s[4:5], s[26:27]
	s_mul_hi_u32 s0, s21, s24
	s_mul_hi_u32 s19, s21, s25
	s_wait_alu 0xfffe
	s_add_co_u32 s4, s26, s13
	s_add_co_ci_u32 s4, s27, s0
	s_mul_i32 s24, s21, s25
	s_add_co_ci_u32 s25, s19, 0
	s_wait_alu 0xfffe
	s_add_nc_u64 s[24:25], s[4:5], s[24:25]
	s_wait_alu 0xfffe
	s_add_co_u32 s20, s20, s24
	s_cselect_b32 s0, -1, 0
	s_wait_alu 0xfffe
	s_cmp_lg_u32 s0, 0
	s_add_co_ci_u32 s21, s21, s25
	s_wait_alu 0xfffe
	s_mul_u64 s[22:23], s[22:23], s[20:21]
	s_wait_alu 0xfffe
	s_mul_hi_u32 s25, s20, s23
	s_mul_i32 s24, s20, s23
	s_mul_hi_u32 s4, s20, s22
	s_mul_i32 s13, s21, s22
	s_wait_alu 0xfffe
	s_add_nc_u64 s[24:25], s[4:5], s[24:25]
	s_mul_hi_u32 s0, s21, s22
	s_mul_hi_u32 s19, s21, s23
	s_wait_alu 0xfffe
	s_add_co_u32 s4, s24, s13
	s_add_co_ci_u32 s4, s25, s0
	s_mul_i32 s22, s21, s23
	s_add_co_ci_u32 s23, s19, 0
	s_wait_alu 0xfffe
	s_add_nc_u64 s[22:23], s[4:5], s[22:23]
	s_wait_alu 0xfffe
	s_add_co_u32 s0, s20, s22
	s_cselect_b32 s4, -1, 0
	s_wait_alu 0xfffe
	v_mul_hi_u32 v20, v18, s0
	s_cmp_lg_u32 s4, 0
	v_mad_co_u64_u32 v[10:11], null, v19, s0, 0
	s_add_co_ci_u32 s4, s21, s23
	s_wait_alu 0xfffe
	v_mad_co_u64_u32 v[8:9], null, v18, s4, 0
	v_mad_co_u64_u32 v[12:13], null, v19, s4, 0
	s_delay_alu instid0(VALU_DEP_2) | instskip(SKIP_1) | instid1(VALU_DEP_3)
	v_add_co_u32 v8, vcc_lo, v20, v8
	s_wait_alu 0xfffd
	v_add_co_ci_u32_e64 v9, null, 0, v9, vcc_lo
	s_delay_alu instid0(VALU_DEP_2) | instskip(SKIP_1) | instid1(VALU_DEP_2)
	v_add_co_u32 v8, vcc_lo, v8, v10
	s_wait_alu 0xfffd
	v_add_co_ci_u32_e32 v8, vcc_lo, v9, v11, vcc_lo
	s_wait_alu 0xfffd
	v_add_co_ci_u32_e32 v9, vcc_lo, 0, v13, vcc_lo
	s_delay_alu instid0(VALU_DEP_2) | instskip(SKIP_1) | instid1(VALU_DEP_2)
	v_add_co_u32 v10, vcc_lo, v8, v12
	s_wait_alu 0xfffd
	v_add_co_ci_u32_e64 v11, null, 0, v9, vcc_lo
	s_delay_alu instid0(VALU_DEP_2) | instskip(SKIP_1) | instid1(VALU_DEP_3)
	v_mul_lo_u32 v12, s15, v10
	v_mad_co_u64_u32 v[8:9], null, s14, v10, 0
	v_mul_lo_u32 v13, s14, v11
	s_delay_alu instid0(VALU_DEP_2) | instskip(NEXT) | instid1(VALU_DEP_2)
	v_sub_co_u32 v8, vcc_lo, v18, v8
	v_add3_u32 v9, v9, v13, v12
	v_add_co_u32 v13, s0, v10, 2
	s_wait_alu 0xf1ff
	v_add_co_ci_u32_e64 v18, null, 0, v11, s0
	s_delay_alu instid0(VALU_DEP_3) | instskip(SKIP_3) | instid1(VALU_DEP_3)
	v_sub_nc_u32_e32 v12, v19, v9
	v_sub_co_u32 v20, s0, v8, s14
	s_wait_alu 0xfffd
	v_sub_co_ci_u32_e64 v9, null, v19, v9, vcc_lo
	v_subrev_co_ci_u32_e64 v12, null, s15, v12, vcc_lo
	s_delay_alu instid0(VALU_DEP_3) | instskip(SKIP_1) | instid1(VALU_DEP_2)
	v_cmp_le_u32_e32 vcc_lo, s14, v20
	s_wait_alu 0xf1ff
	v_subrev_co_ci_u32_e64 v12, null, 0, v12, s0
	s_wait_alu 0xfffd
	v_cndmask_b32_e64 v19, 0, -1, vcc_lo
	s_delay_alu instid0(VALU_DEP_2)
	v_cmp_le_u32_e32 vcc_lo, s15, v12
	s_wait_alu 0xfffd
	v_cndmask_b32_e64 v20, 0, -1, vcc_lo
	v_cmp_le_u32_e32 vcc_lo, s14, v8
	s_wait_alu 0xfffd
	v_cndmask_b32_e64 v8, 0, -1, vcc_lo
	;; [unrolled: 3-line block ×3, first 2 shown]
	v_cmp_eq_u32_e32 vcc_lo, s15, v12
	s_wait_alu 0xfffd
	v_cndmask_b32_e32 v12, v20, v19, vcc_lo
	v_add_co_u32 v19, vcc_lo, v10, 1
	s_wait_alu 0xfffd
	v_add_co_ci_u32_e64 v20, null, 0, v11, vcc_lo
	v_cmp_eq_u32_e32 vcc_lo, s15, v9
	s_wait_alu 0xfffd
	v_cndmask_b32_e32 v8, v21, v8, vcc_lo
	v_cmp_ne_u32_e32 vcc_lo, 0, v12
	v_xor_b32_e32 v12, s12, v15
	s_wait_alu 0xfffd
	v_cndmask_b32_e32 v9, v20, v18, vcc_lo
	v_cmp_ne_u32_e64 s0, 0, v8
	v_cndmask_b32_e32 v8, v19, v13, vcc_lo
	s_wait_alu 0xf1ff
	s_delay_alu instid0(VALU_DEP_2) | instskip(NEXT) | instid1(VALU_DEP_2)
	v_cndmask_b32_e64 v9, v11, v9, s0
	v_cndmask_b32_e64 v8, v10, v8, s0
                                        ; implicit-def: $vgpr10_vgpr11
	s_delay_alu instid0(VALU_DEP_2) | instskip(NEXT) | instid1(VALU_DEP_2)
	v_xor_b32_e32 v9, v9, v12
	v_xor_b32_e32 v8, v8, v12
	s_delay_alu instid0(VALU_DEP_1) | instskip(SKIP_1) | instid1(VALU_DEP_3)
	v_sub_co_u32 v8, vcc_lo, v8, v12
	s_wait_alu 0xfffd
	v_sub_co_ci_u32_e64 v9, null, v9, v12, vcc_lo
.LBB51_47:                              ;   in Loop: Header=BB51_41 Depth=1
	s_and_not1_saveexec_b32 s0, s18
	s_cbranch_execz .LBB51_49
; %bb.48:                               ;   in Loop: Header=BB51_41 Depth=1
	v_cvt_f32_u32_e32 v8, s6
	s_sub_co_i32 s4, 0, s6
	s_delay_alu instid0(VALU_DEP_1) | instskip(NEXT) | instid1(TRANS32_DEP_1)
	v_rcp_iflag_f32_e32 v8, v8
	v_mul_f32_e32 v8, 0x4f7ffffe, v8
	s_delay_alu instid0(VALU_DEP_1) | instskip(SKIP_1) | instid1(VALU_DEP_1)
	v_cvt_u32_f32_e32 v8, v8
	s_wait_alu 0xfffe
	v_mul_lo_u32 v9, s4, v8
	s_delay_alu instid0(VALU_DEP_1) | instskip(NEXT) | instid1(VALU_DEP_1)
	v_mul_hi_u32 v9, v8, v9
	v_add_nc_u32_e32 v8, v8, v9
	s_delay_alu instid0(VALU_DEP_1) | instskip(NEXT) | instid1(VALU_DEP_1)
	v_mul_hi_u32 v8, v10, v8
	v_mul_lo_u32 v9, v8, s6
	s_delay_alu instid0(VALU_DEP_1) | instskip(SKIP_1) | instid1(VALU_DEP_2)
	v_sub_nc_u32_e32 v9, v10, v9
	v_add_nc_u32_e32 v10, 1, v8
	v_subrev_nc_u32_e32 v11, s6, v9
	v_cmp_le_u32_e32 vcc_lo, s6, v9
	s_wait_alu 0xfffd
	s_delay_alu instid0(VALU_DEP_2) | instskip(NEXT) | instid1(VALU_DEP_1)
	v_dual_cndmask_b32 v9, v9, v11 :: v_dual_cndmask_b32 v8, v8, v10
	v_cmp_le_u32_e32 vcc_lo, s6, v9
	s_delay_alu instid0(VALU_DEP_2) | instskip(SKIP_1) | instid1(VALU_DEP_1)
	v_dual_mov_b32 v9, v14 :: v_dual_add_nc_u32 v10, 1, v8
	s_wait_alu 0xfffd
	v_cndmask_b32_e32 v8, v8, v10, vcc_lo
.LBB51_49:                              ;   in Loop: Header=BB51_41 Depth=1
	s_wait_alu 0xfffe
	s_or_b32 exec_lo, exec_lo, s0
	s_wait_loadcnt 0x0
	v_or_b32_e32 v15, s7, v3
                                        ; implicit-def: $vgpr10_vgpr11
	s_mov_b32 s0, exec_lo
	s_delay_alu instid0(VALU_DEP_1)
	v_cmpx_ne_u64_e32 0, v[14:15]
	s_wait_alu 0xfffe
	s_xor_b32 s18, exec_lo, s0
	s_cbranch_execz .LBB51_51
; %bb.50:                               ;   in Loop: Header=BB51_41 Depth=1
	s_ashr_i32 s12, s7, 31
	v_ashrrev_i32_e32 v15, 31, v3
	s_wait_alu 0xfffe
	s_mov_b32 s13, s12
	s_wait_alu 0xfffe
	s_add_nc_u64 s[14:15], s[6:7], s[12:13]
	v_add_co_u32 v2, vcc_lo, v2, v15
	s_wait_alu 0xfffe
	s_xor_b64 s[14:15], s[14:15], s[12:13]
	s_wait_alu 0xfffd
	v_add_co_ci_u32_e64 v3, null, v3, v15, vcc_lo
	s_wait_alu 0xfffe
	s_cvt_f32_u32 s0, s14
	s_cvt_f32_u32 s4, s15
	s_sub_nc_u64 s[22:23], 0, s[14:15]
	v_xor_b32_e32 v18, v2, v15
	v_xor_b32_e32 v19, v3, v15
	s_wait_alu 0xfffe
	s_fmamk_f32 s0, s4, 0x4f800000, s0
	s_wait_alu 0xfffe
	s_delay_alu instid0(SALU_CYCLE_2) | instskip(NEXT) | instid1(TRANS32_DEP_1)
	v_s_rcp_f32 s0, s0
	s_mul_f32 s0, s0, 0x5f7ffffc
	s_wait_alu 0xfffe
	s_delay_alu instid0(SALU_CYCLE_2) | instskip(SKIP_1) | instid1(SALU_CYCLE_2)
	s_mul_f32 s4, s0, 0x2f800000
	s_wait_alu 0xfffe
	s_trunc_f32 s4, s4
	s_wait_alu 0xfffe
	s_delay_alu instid0(SALU_CYCLE_2) | instskip(SKIP_2) | instid1(SALU_CYCLE_1)
	s_fmamk_f32 s0, s4, 0xcf800000, s0
	s_cvt_u32_f32 s21, s4
	s_wait_alu 0xfffe
	s_cvt_u32_f32 s20, s0
	s_wait_alu 0xfffe
	s_delay_alu instid0(SALU_CYCLE_2)
	s_mul_u64 s[24:25], s[22:23], s[20:21]
	s_wait_alu 0xfffe
	s_mul_hi_u32 s27, s20, s25
	s_mul_i32 s26, s20, s25
	s_mul_hi_u32 s4, s20, s24
	s_mul_i32 s13, s21, s24
	s_wait_alu 0xfffe
	s_add_nc_u64 s[26:27], s[4:5], s[26:27]
	s_mul_hi_u32 s0, s21, s24
	s_mul_hi_u32 s19, s21, s25
	s_wait_alu 0xfffe
	s_add_co_u32 s4, s26, s13
	s_add_co_ci_u32 s4, s27, s0
	s_mul_i32 s24, s21, s25
	s_add_co_ci_u32 s25, s19, 0
	s_wait_alu 0xfffe
	s_add_nc_u64 s[24:25], s[4:5], s[24:25]
	s_wait_alu 0xfffe
	s_add_co_u32 s20, s20, s24
	s_cselect_b32 s0, -1, 0
	s_wait_alu 0xfffe
	s_cmp_lg_u32 s0, 0
	s_add_co_ci_u32 s21, s21, s25
	s_wait_alu 0xfffe
	s_mul_u64 s[22:23], s[22:23], s[20:21]
	s_wait_alu 0xfffe
	s_mul_hi_u32 s25, s20, s23
	s_mul_i32 s24, s20, s23
	s_mul_hi_u32 s4, s20, s22
	s_mul_i32 s13, s21, s22
	s_wait_alu 0xfffe
	s_add_nc_u64 s[24:25], s[4:5], s[24:25]
	s_mul_hi_u32 s0, s21, s22
	s_mul_hi_u32 s19, s21, s23
	s_wait_alu 0xfffe
	s_add_co_u32 s4, s24, s13
	s_add_co_ci_u32 s4, s25, s0
	s_mul_i32 s22, s21, s23
	s_add_co_ci_u32 s23, s19, 0
	s_wait_alu 0xfffe
	s_add_nc_u64 s[22:23], s[4:5], s[22:23]
	s_wait_alu 0xfffe
	s_add_co_u32 s0, s20, s22
	s_cselect_b32 s4, -1, 0
	s_wait_alu 0xfffe
	v_mul_hi_u32 v20, v18, s0
	s_cmp_lg_u32 s4, 0
	v_mad_co_u64_u32 v[10:11], null, v19, s0, 0
	s_add_co_ci_u32 s4, s21, s23
	s_wait_alu 0xfffe
	v_mad_co_u64_u32 v[2:3], null, v18, s4, 0
	v_mad_co_u64_u32 v[12:13], null, v19, s4, 0
	s_delay_alu instid0(VALU_DEP_2) | instskip(SKIP_1) | instid1(VALU_DEP_3)
	v_add_co_u32 v2, vcc_lo, v20, v2
	s_wait_alu 0xfffd
	v_add_co_ci_u32_e64 v3, null, 0, v3, vcc_lo
	s_delay_alu instid0(VALU_DEP_2) | instskip(SKIP_1) | instid1(VALU_DEP_2)
	v_add_co_u32 v2, vcc_lo, v2, v10
	s_wait_alu 0xfffd
	v_add_co_ci_u32_e32 v2, vcc_lo, v3, v11, vcc_lo
	s_wait_alu 0xfffd
	v_add_co_ci_u32_e32 v3, vcc_lo, 0, v13, vcc_lo
	s_delay_alu instid0(VALU_DEP_2) | instskip(SKIP_1) | instid1(VALU_DEP_2)
	v_add_co_u32 v10, vcc_lo, v2, v12
	s_wait_alu 0xfffd
	v_add_co_ci_u32_e64 v11, null, 0, v3, vcc_lo
	s_delay_alu instid0(VALU_DEP_2) | instskip(SKIP_1) | instid1(VALU_DEP_3)
	v_mul_lo_u32 v12, s15, v10
	v_mad_co_u64_u32 v[2:3], null, s14, v10, 0
	v_mul_lo_u32 v13, s14, v11
	s_delay_alu instid0(VALU_DEP_2) | instskip(NEXT) | instid1(VALU_DEP_2)
	v_sub_co_u32 v2, vcc_lo, v18, v2
	v_add3_u32 v3, v3, v13, v12
	v_add_co_u32 v13, s0, v10, 2
	s_wait_alu 0xf1ff
	v_add_co_ci_u32_e64 v18, null, 0, v11, s0
	s_delay_alu instid0(VALU_DEP_3) | instskip(SKIP_3) | instid1(VALU_DEP_3)
	v_sub_nc_u32_e32 v12, v19, v3
	v_sub_co_u32 v20, s0, v2, s14
	s_wait_alu 0xfffd
	v_sub_co_ci_u32_e64 v3, null, v19, v3, vcc_lo
	v_subrev_co_ci_u32_e64 v12, null, s15, v12, vcc_lo
	s_delay_alu instid0(VALU_DEP_3) | instskip(SKIP_1) | instid1(VALU_DEP_2)
	v_cmp_le_u32_e32 vcc_lo, s14, v20
	s_wait_alu 0xf1ff
	v_subrev_co_ci_u32_e64 v12, null, 0, v12, s0
	s_wait_alu 0xfffd
	v_cndmask_b32_e64 v19, 0, -1, vcc_lo
	s_delay_alu instid0(VALU_DEP_2)
	v_cmp_le_u32_e32 vcc_lo, s15, v12
	s_wait_alu 0xfffd
	v_cndmask_b32_e64 v20, 0, -1, vcc_lo
	v_cmp_le_u32_e32 vcc_lo, s14, v2
	s_wait_alu 0xfffd
	v_cndmask_b32_e64 v2, 0, -1, vcc_lo
	;; [unrolled: 3-line block ×3, first 2 shown]
	v_cmp_eq_u32_e32 vcc_lo, s15, v12
	s_wait_alu 0xfffd
	v_cndmask_b32_e32 v12, v20, v19, vcc_lo
	v_add_co_u32 v19, vcc_lo, v10, 1
	s_wait_alu 0xfffd
	v_add_co_ci_u32_e64 v20, null, 0, v11, vcc_lo
	v_cmp_eq_u32_e32 vcc_lo, s15, v3
	s_wait_alu 0xfffd
	v_cndmask_b32_e32 v2, v21, v2, vcc_lo
	v_cmp_ne_u32_e32 vcc_lo, 0, v12
	v_xor_b32_e32 v12, s12, v15
	s_delay_alu instid0(VALU_DEP_3) | instskip(SKIP_3) | instid1(VALU_DEP_1)
	v_cmp_ne_u32_e64 s0, 0, v2
	s_wait_alu 0xfffd
	v_dual_cndmask_b32 v3, v20, v18 :: v_dual_cndmask_b32 v2, v19, v13
	s_wait_alu 0xf1ff
	v_cndmask_b32_e64 v3, v11, v3, s0
	s_delay_alu instid0(VALU_DEP_2) | instskip(NEXT) | instid1(VALU_DEP_2)
	v_cndmask_b32_e64 v2, v10, v2, s0
	v_xor_b32_e32 v3, v3, v12
	s_delay_alu instid0(VALU_DEP_2) | instskip(NEXT) | instid1(VALU_DEP_1)
	v_xor_b32_e32 v2, v2, v12
	v_sub_co_u32 v10, vcc_lo, v2, v12
	s_wait_alu 0xfffd
	s_delay_alu instid0(VALU_DEP_3)
	v_sub_co_ci_u32_e64 v11, null, v3, v12, vcc_lo
.LBB51_51:                              ;   in Loop: Header=BB51_41 Depth=1
	s_and_not1_saveexec_b32 s0, s18
	s_cbranch_execz .LBB51_53
; %bb.52:                               ;   in Loop: Header=BB51_41 Depth=1
	v_cvt_f32_u32_e32 v3, s6
	s_sub_co_i32 s4, 0, s6
	s_delay_alu instid0(VALU_DEP_1) | instskip(NEXT) | instid1(TRANS32_DEP_1)
	v_rcp_iflag_f32_e32 v3, v3
	v_mul_f32_e32 v3, 0x4f7ffffe, v3
	s_delay_alu instid0(VALU_DEP_1) | instskip(SKIP_1) | instid1(VALU_DEP_1)
	v_cvt_u32_f32_e32 v3, v3
	s_wait_alu 0xfffe
	v_mul_lo_u32 v10, s4, v3
	s_delay_alu instid0(VALU_DEP_1) | instskip(NEXT) | instid1(VALU_DEP_1)
	v_mul_hi_u32 v10, v3, v10
	v_add_nc_u32_e32 v3, v3, v10
	s_delay_alu instid0(VALU_DEP_1) | instskip(NEXT) | instid1(VALU_DEP_1)
	v_mul_hi_u32 v3, v2, v3
	v_mul_lo_u32 v10, v3, s6
	s_delay_alu instid0(VALU_DEP_1) | instskip(SKIP_1) | instid1(VALU_DEP_2)
	v_sub_nc_u32_e32 v2, v2, v10
	v_add_nc_u32_e32 v10, 1, v3
	v_subrev_nc_u32_e32 v11, s6, v2
	v_cmp_le_u32_e32 vcc_lo, s6, v2
	s_wait_alu 0xfffd
	s_delay_alu instid0(VALU_DEP_2) | instskip(SKIP_2) | instid1(VALU_DEP_3)
	v_cndmask_b32_e32 v2, v2, v11, vcc_lo
	v_mov_b32_e32 v11, v14
	v_cndmask_b32_e32 v3, v3, v10, vcc_lo
	v_cmp_le_u32_e32 vcc_lo, s6, v2
	s_delay_alu instid0(VALU_DEP_2) | instskip(SKIP_1) | instid1(VALU_DEP_1)
	v_add_nc_u32_e32 v10, 1, v3
	s_wait_alu 0xfffd
	v_cndmask_b32_e32 v10, v3, v10, vcc_lo
.LBB51_53:                              ;   in Loop: Header=BB51_41 Depth=1
	s_wait_alu 0xfffe
	s_or_b32 exec_lo, exec_lo, s0
	v_or_b32_e32 v15, s7, v5
	s_mov_b32 s0, exec_lo
	s_delay_alu instid0(VALU_DEP_1)
	v_cmpx_ne_u64_e32 0, v[14:15]
	s_wait_alu 0xfffe
	s_xor_b32 s18, exec_lo, s0
	s_cbranch_execz .LBB51_55
; %bb.54:                               ;   in Loop: Header=BB51_41 Depth=1
	s_ashr_i32 s12, s7, 31
	v_ashrrev_i32_e32 v15, 31, v5
	s_wait_alu 0xfffe
	s_mov_b32 s13, s12
	s_wait_alu 0xfffe
	s_add_nc_u64 s[14:15], s[6:7], s[12:13]
	v_add_co_u32 v2, vcc_lo, v4, v15
	s_wait_alu 0xfffe
	s_xor_b64 s[14:15], s[14:15], s[12:13]
	s_wait_alu 0xfffd
	v_add_co_ci_u32_e64 v3, null, v5, v15, vcc_lo
	s_wait_alu 0xfffe
	s_cvt_f32_u32 s0, s14
	s_cvt_f32_u32 s4, s15
	s_sub_nc_u64 s[22:23], 0, s[14:15]
	v_xor_b32_e32 v18, v2, v15
	v_xor_b32_e32 v19, v3, v15
	s_wait_alu 0xfffe
	s_fmamk_f32 s0, s4, 0x4f800000, s0
	s_wait_alu 0xfffe
	s_delay_alu instid0(SALU_CYCLE_2) | instskip(NEXT) | instid1(TRANS32_DEP_1)
	v_s_rcp_f32 s0, s0
	s_mul_f32 s0, s0, 0x5f7ffffc
	s_wait_alu 0xfffe
	s_delay_alu instid0(SALU_CYCLE_2) | instskip(SKIP_1) | instid1(SALU_CYCLE_2)
	s_mul_f32 s4, s0, 0x2f800000
	s_wait_alu 0xfffe
	s_trunc_f32 s4, s4
	s_wait_alu 0xfffe
	s_delay_alu instid0(SALU_CYCLE_2) | instskip(SKIP_2) | instid1(SALU_CYCLE_1)
	s_fmamk_f32 s0, s4, 0xcf800000, s0
	s_cvt_u32_f32 s21, s4
	s_wait_alu 0xfffe
	s_cvt_u32_f32 s20, s0
	s_wait_alu 0xfffe
	s_delay_alu instid0(SALU_CYCLE_2)
	s_mul_u64 s[24:25], s[22:23], s[20:21]
	s_wait_alu 0xfffe
	s_mul_hi_u32 s27, s20, s25
	s_mul_i32 s26, s20, s25
	s_mul_hi_u32 s4, s20, s24
	s_mul_i32 s7, s21, s24
	s_wait_alu 0xfffe
	s_add_nc_u64 s[26:27], s[4:5], s[26:27]
	s_mul_hi_u32 s0, s21, s24
	s_mul_hi_u32 s13, s21, s25
	s_wait_alu 0xfffe
	s_add_co_u32 s4, s26, s7
	s_add_co_ci_u32 s4, s27, s0
	s_mul_i32 s24, s21, s25
	s_add_co_ci_u32 s25, s13, 0
	s_wait_alu 0xfffe
	s_add_nc_u64 s[24:25], s[4:5], s[24:25]
	s_wait_alu 0xfffe
	s_add_co_u32 s20, s20, s24
	s_cselect_b32 s0, -1, 0
	s_wait_alu 0xfffe
	s_cmp_lg_u32 s0, 0
	s_add_co_ci_u32 s21, s21, s25
	s_wait_alu 0xfffe
	s_mul_u64 s[22:23], s[22:23], s[20:21]
	s_wait_alu 0xfffe
	s_mul_hi_u32 s25, s20, s23
	s_mul_i32 s24, s20, s23
	s_mul_hi_u32 s4, s20, s22
	s_mul_i32 s7, s21, s22
	s_wait_alu 0xfffe
	s_add_nc_u64 s[24:25], s[4:5], s[24:25]
	s_mul_hi_u32 s0, s21, s22
	s_mul_hi_u32 s13, s21, s23
	s_wait_alu 0xfffe
	s_add_co_u32 s4, s24, s7
	s_add_co_ci_u32 s4, s25, s0
	s_mul_i32 s22, s21, s23
	s_add_co_ci_u32 s23, s13, 0
	s_wait_alu 0xfffe
	s_add_nc_u64 s[22:23], s[4:5], s[22:23]
	s_wait_alu 0xfffe
	s_add_co_u32 s0, s20, s22
	s_cselect_b32 s4, -1, 0
	s_wait_alu 0xfffe
	v_mul_hi_u32 v20, v18, s0
	s_cmp_lg_u32 s4, 0
	v_mad_co_u64_u32 v[4:5], null, v19, s0, 0
	s_add_co_ci_u32 s4, s21, s23
	s_wait_alu 0xfffe
	v_mad_co_u64_u32 v[2:3], null, v18, s4, 0
	v_mad_co_u64_u32 v[12:13], null, v19, s4, 0
	s_delay_alu instid0(VALU_DEP_2) | instskip(SKIP_1) | instid1(VALU_DEP_3)
	v_add_co_u32 v2, vcc_lo, v20, v2
	s_wait_alu 0xfffd
	v_add_co_ci_u32_e64 v3, null, 0, v3, vcc_lo
	s_delay_alu instid0(VALU_DEP_2) | instskip(SKIP_1) | instid1(VALU_DEP_2)
	v_add_co_u32 v2, vcc_lo, v2, v4
	s_wait_alu 0xfffd
	v_add_co_ci_u32_e32 v2, vcc_lo, v3, v5, vcc_lo
	s_wait_alu 0xfffd
	v_add_co_ci_u32_e32 v3, vcc_lo, 0, v13, vcc_lo
	s_delay_alu instid0(VALU_DEP_2) | instskip(SKIP_1) | instid1(VALU_DEP_2)
	v_add_co_u32 v4, vcc_lo, v2, v12
	s_wait_alu 0xfffd
	v_add_co_ci_u32_e64 v5, null, 0, v3, vcc_lo
	s_delay_alu instid0(VALU_DEP_2) | instskip(SKIP_1) | instid1(VALU_DEP_3)
	v_mul_lo_u32 v12, s15, v4
	v_mad_co_u64_u32 v[2:3], null, s14, v4, 0
	v_mul_lo_u32 v13, s14, v5
	s_delay_alu instid0(VALU_DEP_2) | instskip(NEXT) | instid1(VALU_DEP_2)
	v_sub_co_u32 v2, vcc_lo, v18, v2
	v_add3_u32 v3, v3, v13, v12
	v_add_co_u32 v13, s0, v4, 2
	s_wait_alu 0xf1ff
	v_add_co_ci_u32_e64 v18, null, 0, v5, s0
	s_delay_alu instid0(VALU_DEP_3) | instskip(SKIP_3) | instid1(VALU_DEP_3)
	v_sub_nc_u32_e32 v12, v19, v3
	v_sub_co_u32 v20, s0, v2, s14
	s_wait_alu 0xfffd
	v_sub_co_ci_u32_e64 v3, null, v19, v3, vcc_lo
	v_subrev_co_ci_u32_e64 v12, null, s15, v12, vcc_lo
	s_delay_alu instid0(VALU_DEP_3) | instskip(SKIP_1) | instid1(VALU_DEP_2)
	v_cmp_le_u32_e32 vcc_lo, s14, v20
	s_wait_alu 0xf1ff
	v_subrev_co_ci_u32_e64 v12, null, 0, v12, s0
	s_wait_alu 0xfffd
	v_cndmask_b32_e64 v19, 0, -1, vcc_lo
	s_delay_alu instid0(VALU_DEP_2)
	v_cmp_le_u32_e32 vcc_lo, s15, v12
	s_wait_alu 0xfffd
	v_cndmask_b32_e64 v20, 0, -1, vcc_lo
	v_cmp_le_u32_e32 vcc_lo, s14, v2
	s_wait_alu 0xfffd
	v_cndmask_b32_e64 v2, 0, -1, vcc_lo
	;; [unrolled: 3-line block ×3, first 2 shown]
	v_cmp_eq_u32_e32 vcc_lo, s15, v12
	s_wait_alu 0xfffd
	v_cndmask_b32_e32 v12, v20, v19, vcc_lo
	v_add_co_u32 v19, vcc_lo, v4, 1
	s_wait_alu 0xfffd
	v_add_co_ci_u32_e64 v20, null, 0, v5, vcc_lo
	v_cmp_eq_u32_e32 vcc_lo, s15, v3
	s_wait_alu 0xfffd
	v_cndmask_b32_e32 v2, v21, v2, vcc_lo
	v_cmp_ne_u32_e32 vcc_lo, 0, v12
	s_delay_alu instid0(VALU_DEP_2) | instskip(SKIP_4) | instid1(VALU_DEP_2)
	v_cmp_ne_u32_e64 s0, 0, v2
	s_wait_alu 0xfffd
	v_dual_cndmask_b32 v3, v20, v18 :: v_dual_cndmask_b32 v2, v19, v13
	v_xor_b32_e32 v13, s12, v15
	s_wait_alu 0xf1ff
	v_cndmask_b32_e64 v3, v5, v3, s0
	s_delay_alu instid0(VALU_DEP_3) | instskip(NEXT) | instid1(VALU_DEP_2)
	v_cndmask_b32_e64 v2, v4, v2, s0
                                        ; implicit-def: $vgpr4_vgpr5
	v_xor_b32_e32 v3, v3, v13
	s_delay_alu instid0(VALU_DEP_2) | instskip(NEXT) | instid1(VALU_DEP_1)
	v_xor_b32_e32 v2, v2, v13
	v_sub_co_u32 v12, vcc_lo, v2, v13
	s_wait_alu 0xfffd
	s_delay_alu instid0(VALU_DEP_3)
	v_sub_co_ci_u32_e64 v13, null, v3, v13, vcc_lo
.LBB51_55:                              ;   in Loop: Header=BB51_41 Depth=1
	s_and_not1_saveexec_b32 s0, s18
	s_cbranch_execz .LBB51_40
; %bb.56:                               ;   in Loop: Header=BB51_41 Depth=1
	v_cvt_f32_u32_e32 v2, s6
	s_sub_co_i32 s4, 0, s6
	v_mov_b32_e32 v13, v14
	s_delay_alu instid0(VALU_DEP_2) | instskip(NEXT) | instid1(TRANS32_DEP_1)
	v_rcp_iflag_f32_e32 v2, v2
	v_mul_f32_e32 v2, 0x4f7ffffe, v2
	s_delay_alu instid0(VALU_DEP_1) | instskip(SKIP_1) | instid1(VALU_DEP_1)
	v_cvt_u32_f32_e32 v2, v2
	s_wait_alu 0xfffe
	v_mul_lo_u32 v3, s4, v2
	s_delay_alu instid0(VALU_DEP_1) | instskip(NEXT) | instid1(VALU_DEP_1)
	v_mul_hi_u32 v3, v2, v3
	v_add_nc_u32_e32 v2, v2, v3
	s_delay_alu instid0(VALU_DEP_1) | instskip(NEXT) | instid1(VALU_DEP_1)
	v_mul_hi_u32 v2, v4, v2
	v_mul_lo_u32 v3, v2, s6
	s_delay_alu instid0(VALU_DEP_1) | instskip(SKIP_1) | instid1(VALU_DEP_2)
	v_sub_nc_u32_e32 v3, v4, v3
	v_add_nc_u32_e32 v4, 1, v2
	v_subrev_nc_u32_e32 v5, s6, v3
	v_cmp_le_u32_e32 vcc_lo, s6, v3
	s_wait_alu 0xfffd
	s_delay_alu instid0(VALU_DEP_2) | instskip(NEXT) | instid1(VALU_DEP_1)
	v_dual_cndmask_b32 v3, v3, v5 :: v_dual_cndmask_b32 v2, v2, v4
	v_cmp_le_u32_e32 vcc_lo, s6, v3
	s_delay_alu instid0(VALU_DEP_2) | instskip(SKIP_1) | instid1(VALU_DEP_1)
	v_add_nc_u32_e32 v4, 1, v2
	s_wait_alu 0xfffd
	v_cndmask_b32_e32 v12, v2, v4, vcc_lo
	s_branch .LBB51_40
.LBB51_57:
	s_endpgm
	.section	.rodata,"a",@progbits
	.p2align	6, 0x0
	.amdhsa_kernel _ZN2at6native12_GLOBAL__N_125multi_tensor_apply_kernelINS1_18TensorListMetadataILi1EEENS1_27BinaryOpScalarTensorFunctorIlLi1ELi1ELi0EEEJSt7dividesIlEPllEEEvT_T0_DpT1_
		.amdhsa_group_segment_fixed_size 0
		.amdhsa_private_segment_fixed_size 0
		.amdhsa_kernarg_size 3648
		.amdhsa_user_sgpr_count 2
		.amdhsa_user_sgpr_dispatch_ptr 0
		.amdhsa_user_sgpr_queue_ptr 0
		.amdhsa_user_sgpr_kernarg_segment_ptr 1
		.amdhsa_user_sgpr_dispatch_id 0
		.amdhsa_user_sgpr_private_segment_size 0
		.amdhsa_wavefront_size32 1
		.amdhsa_uses_dynamic_stack 0
		.amdhsa_enable_private_segment 0
		.amdhsa_system_sgpr_workgroup_id_x 1
		.amdhsa_system_sgpr_workgroup_id_y 0
		.amdhsa_system_sgpr_workgroup_id_z 0
		.amdhsa_system_sgpr_workgroup_info 0
		.amdhsa_system_vgpr_workitem_id 0
		.amdhsa_next_free_vgpr 29
		.amdhsa_next_free_sgpr 48
		.amdhsa_reserve_vcc 1
		.amdhsa_float_round_mode_32 0
		.amdhsa_float_round_mode_16_64 0
		.amdhsa_float_denorm_mode_32 3
		.amdhsa_float_denorm_mode_16_64 3
		.amdhsa_fp16_overflow 0
		.amdhsa_workgroup_processor_mode 1
		.amdhsa_memory_ordered 1
		.amdhsa_forward_progress 1
		.amdhsa_inst_pref_size 72
		.amdhsa_round_robin_scheduling 0
		.amdhsa_exception_fp_ieee_invalid_op 0
		.amdhsa_exception_fp_denorm_src 0
		.amdhsa_exception_fp_ieee_div_zero 0
		.amdhsa_exception_fp_ieee_overflow 0
		.amdhsa_exception_fp_ieee_underflow 0
		.amdhsa_exception_fp_ieee_inexact 0
		.amdhsa_exception_int_div_zero 0
	.end_amdhsa_kernel
	.section	.text._ZN2at6native12_GLOBAL__N_125multi_tensor_apply_kernelINS1_18TensorListMetadataILi1EEENS1_27BinaryOpScalarTensorFunctorIlLi1ELi1ELi0EEEJSt7dividesIlEPllEEEvT_T0_DpT1_,"axG",@progbits,_ZN2at6native12_GLOBAL__N_125multi_tensor_apply_kernelINS1_18TensorListMetadataILi1EEENS1_27BinaryOpScalarTensorFunctorIlLi1ELi1ELi0EEEJSt7dividesIlEPllEEEvT_T0_DpT1_,comdat
.Lfunc_end51:
	.size	_ZN2at6native12_GLOBAL__N_125multi_tensor_apply_kernelINS1_18TensorListMetadataILi1EEENS1_27BinaryOpScalarTensorFunctorIlLi1ELi1ELi0EEEJSt7dividesIlEPllEEEvT_T0_DpT1_, .Lfunc_end51-_ZN2at6native12_GLOBAL__N_125multi_tensor_apply_kernelINS1_18TensorListMetadataILi1EEENS1_27BinaryOpScalarTensorFunctorIlLi1ELi1ELi0EEEJSt7dividesIlEPllEEEvT_T0_DpT1_
                                        ; -- End function
	.set _ZN2at6native12_GLOBAL__N_125multi_tensor_apply_kernelINS1_18TensorListMetadataILi1EEENS1_27BinaryOpScalarTensorFunctorIlLi1ELi1ELi0EEEJSt7dividesIlEPllEEEvT_T0_DpT1_.num_vgpr, 29
	.set _ZN2at6native12_GLOBAL__N_125multi_tensor_apply_kernelINS1_18TensorListMetadataILi1EEENS1_27BinaryOpScalarTensorFunctorIlLi1ELi1ELi0EEEJSt7dividesIlEPllEEEvT_T0_DpT1_.num_agpr, 0
	.set _ZN2at6native12_GLOBAL__N_125multi_tensor_apply_kernelINS1_18TensorListMetadataILi1EEENS1_27BinaryOpScalarTensorFunctorIlLi1ELi1ELi0EEEJSt7dividesIlEPllEEEvT_T0_DpT1_.numbered_sgpr, 48
	.set _ZN2at6native12_GLOBAL__N_125multi_tensor_apply_kernelINS1_18TensorListMetadataILi1EEENS1_27BinaryOpScalarTensorFunctorIlLi1ELi1ELi0EEEJSt7dividesIlEPllEEEvT_T0_DpT1_.num_named_barrier, 0
	.set _ZN2at6native12_GLOBAL__N_125multi_tensor_apply_kernelINS1_18TensorListMetadataILi1EEENS1_27BinaryOpScalarTensorFunctorIlLi1ELi1ELi0EEEJSt7dividesIlEPllEEEvT_T0_DpT1_.private_seg_size, 0
	.set _ZN2at6native12_GLOBAL__N_125multi_tensor_apply_kernelINS1_18TensorListMetadataILi1EEENS1_27BinaryOpScalarTensorFunctorIlLi1ELi1ELi0EEEJSt7dividesIlEPllEEEvT_T0_DpT1_.uses_vcc, 1
	.set _ZN2at6native12_GLOBAL__N_125multi_tensor_apply_kernelINS1_18TensorListMetadataILi1EEENS1_27BinaryOpScalarTensorFunctorIlLi1ELi1ELi0EEEJSt7dividesIlEPllEEEvT_T0_DpT1_.uses_flat_scratch, 0
	.set _ZN2at6native12_GLOBAL__N_125multi_tensor_apply_kernelINS1_18TensorListMetadataILi1EEENS1_27BinaryOpScalarTensorFunctorIlLi1ELi1ELi0EEEJSt7dividesIlEPllEEEvT_T0_DpT1_.has_dyn_sized_stack, 0
	.set _ZN2at6native12_GLOBAL__N_125multi_tensor_apply_kernelINS1_18TensorListMetadataILi1EEENS1_27BinaryOpScalarTensorFunctorIlLi1ELi1ELi0EEEJSt7dividesIlEPllEEEvT_T0_DpT1_.has_recursion, 0
	.set _ZN2at6native12_GLOBAL__N_125multi_tensor_apply_kernelINS1_18TensorListMetadataILi1EEENS1_27BinaryOpScalarTensorFunctorIlLi1ELi1ELi0EEEJSt7dividesIlEPllEEEvT_T0_DpT1_.has_indirect_call, 0
	.section	.AMDGPU.csdata,"",@progbits
; Kernel info:
; codeLenInByte = 9144
; TotalNumSgprs: 50
; NumVgprs: 29
; ScratchSize: 0
; MemoryBound: 1
; FloatMode: 240
; IeeeMode: 1
; LDSByteSize: 0 bytes/workgroup (compile time only)
; SGPRBlocks: 0
; VGPRBlocks: 3
; NumSGPRsForWavesPerEU: 50
; NumVGPRsForWavesPerEU: 29
; Occupancy: 16
; WaveLimiterHint : 0
; COMPUTE_PGM_RSRC2:SCRATCH_EN: 0
; COMPUTE_PGM_RSRC2:USER_SGPR: 2
; COMPUTE_PGM_RSRC2:TRAP_HANDLER: 0
; COMPUTE_PGM_RSRC2:TGID_X_EN: 1
; COMPUTE_PGM_RSRC2:TGID_Y_EN: 0
; COMPUTE_PGM_RSRC2:TGID_Z_EN: 0
; COMPUTE_PGM_RSRC2:TIDIG_COMP_CNT: 0
	.section	.text._ZN2at6native12_GLOBAL__N_125multi_tensor_apply_kernelINS1_18TensorListMetadataILi1EEENS1_27BinaryOpScalarTensorFunctorIsLi1ELi1ELi0EEEJSt7dividesIsEPssEEEvT_T0_DpT1_,"axG",@progbits,_ZN2at6native12_GLOBAL__N_125multi_tensor_apply_kernelINS1_18TensorListMetadataILi1EEENS1_27BinaryOpScalarTensorFunctorIsLi1ELi1ELi0EEEJSt7dividesIsEPssEEEvT_T0_DpT1_,comdat
	.globl	_ZN2at6native12_GLOBAL__N_125multi_tensor_apply_kernelINS1_18TensorListMetadataILi1EEENS1_27BinaryOpScalarTensorFunctorIsLi1ELi1ELi0EEEJSt7dividesIsEPssEEEvT_T0_DpT1_ ; -- Begin function _ZN2at6native12_GLOBAL__N_125multi_tensor_apply_kernelINS1_18TensorListMetadataILi1EEENS1_27BinaryOpScalarTensorFunctorIsLi1ELi1ELi0EEEJSt7dividesIsEPssEEEvT_T0_DpT1_
	.p2align	8
	.type	_ZN2at6native12_GLOBAL__N_125multi_tensor_apply_kernelINS1_18TensorListMetadataILi1EEENS1_27BinaryOpScalarTensorFunctorIsLi1ELi1ELi0EEEJSt7dividesIsEPssEEEvT_T0_DpT1_,@function
_ZN2at6native12_GLOBAL__N_125multi_tensor_apply_kernelINS1_18TensorListMetadataILi1EEENS1_27BinaryOpScalarTensorFunctorIsLi1ELi1ELi0EEEJSt7dividesIsEPssEEEvT_T0_DpT1_: ; @_ZN2at6native12_GLOBAL__N_125multi_tensor_apply_kernelINS1_18TensorListMetadataILi1EEENS1_27BinaryOpScalarTensorFunctorIsLi1ELi1ELi0EEEJSt7dividesIsEPssEEEvT_T0_DpT1_
; %bb.0:
	s_mov_b32 s2, ttmp9
	s_mov_b32 s3, 0
	s_delay_alu instid0(SALU_CYCLE_1)
	s_mul_u64 s[4:5], s[2:3], 3
	s_add_nc_u64 s[6:7], s[0:1], s[2:3]
	s_mov_b32 s17, s3
	s_add_nc_u64 s[4:5], s[6:7], s[4:5]
	s_clause 0x1
	s_load_b32 s4, s[4:5], 0x820
	s_load_u8 s2, s[0:1], ttmp9 offset:0x6e0
	s_wait_kmcnt 0x0
	s_ashr_i32 s5, s4, 31
	s_lshl_b32 s2, s2, 3
	s_clause 0x2
	s_load_b64 s[12:13], s[0:1], s2 offset:0x0
	s_load_b64 s[6:7], s[0:1], s2 offset:0x370
	s_load_b96 s[8:10], s[0:1], 0xd30
	s_lshl_b64 s[14:15], s[4:5], 17
	s_lshl_b64 s[4:5], s[4:5], 16
	s_wait_kmcnt 0x0
	s_and_b32 s2, s12, 7
	s_and_b32 s16, s6, 3
	s_delay_alu instid0(SALU_CYCLE_1)
	s_or_b64 s[2:3], s[2:3], s[16:17]
	s_sub_nc_u64 s[16:17], s[6:7], s[4:5]
	s_cmp_eq_u64 s[2:3], 0
	s_cbranch_scc1 .LBB52_21
; %bb.1:
	v_cmp_lt_i64_e64 s2, s[16:17], 1
	s_and_b32 vcc_lo, exec_lo, s2
	s_cbranch_vccnz .LBB52_20
; %bb.2:
	s_load_b32 s2, s[0:1], 0xd4c
	v_cmp_gt_i64_e64 s6, 0x10000, s[16:17]
	v_dual_mov_b32 v12, 0 :: v_dual_lshlrev_b32 v1, 1, v0
	s_add_nc_u64 s[4:5], s[12:13], s[14:15]
	v_cmp_gt_u64_e64 s7, 0x10000, s[16:17]
	v_mov_b32_e32 v5, 0
	s_and_b32 s6, s6, exec_lo
	v_add_co_u32 v1, s11, s4, v1
	s_cselect_b32 s19, s17, 0
	s_cselect_b32 s18, s16, 0x10000
	v_add_co_ci_u32_e64 v2, null, s5, 0, s11
	v_mov_b32_e32 v13, 0
	s_mov_b32 s3, 0
	s_mov_b64 s[26:27], 0
	s_mov_b32 s23, s3
	s_wait_kmcnt 0x0
	s_and_b32 s2, s2, 0xffff
	s_and_b32 s6, s7, exec_lo
	v_add_co_u32 v6, s11, v0, s2
	s_cselect_b32 s21, s17, 0
	s_cselect_b32 s20, s16, 0x10000
	s_lshl_b32 s6, s2, 1
	v_lshlrev_b32_e32 v3, 1, v6
	s_mul_i32 s7, s2, 3
	v_add_co_u32 v10, s6, s6, v0
	v_add_co_u32 v7, s7, s7, v0
	s_delay_alu instid0(VALU_DEP_3)
	v_add_co_u32 v3, s4, s4, v3
	s_wait_alu 0xf1ff
	v_add_co_ci_u32_e64 v8, null, 0, 0, s7
	v_add_co_ci_u32_e64 v9, null, 0, 0, s11
	;; [unrolled: 1-line block ×4, first 2 shown]
	s_lshl_b32 s22, s2, 2
	s_mul_u64 s[24:25], s[2:3], 6
	s_lshl_b32 s7, s2, 3
	s_branch .LBB52_4
.LBB52_3:                               ;   in Loop: Header=BB52_4 Depth=1
	s_wait_alu 0xfffe
	s_or_b32 exec_lo, exec_lo, s3
	s_add_nc_u64 s[26:27], s[26:27], s[22:23]
	v_add_co_u32 v1, vcc_lo, v1, s7
	s_wait_alu 0xfffe
	v_cmp_lt_i64_e64 s2, s[26:27], s[18:19]
	s_wait_alu 0xfffd
	v_add_co_ci_u32_e64 v2, null, 0, v2, vcc_lo
	v_add_co_u32 v3, vcc_lo, v3, s7
	s_wait_alu 0xfffd
	v_add_co_ci_u32_e64 v4, null, 0, v4, vcc_lo
	s_and_b32 vcc_lo, exec_lo, s2
	s_wait_alu 0xfffe
	s_cbranch_vccz .LBB52_20
.LBB52_4:                               ; =>This Inner Loop Header: Depth=1
	v_add_co_u32 v14, s2, v0, s26
	s_wait_alu 0xf1ff
	v_add_co_ci_u32_e64 v15, null, 0, s27, s2
	v_and_b32_e32 v13, 0xffff0000, v13
	s_delay_alu instid0(VALU_DEP_2)
	v_cmp_gt_u64_e64 s3, s[20:21], v[14:15]
	s_and_saveexec_b32 s2, s3
	s_cbranch_execz .LBB52_6
; %bb.5:                                ;   in Loop: Header=BB52_4 Depth=1
	global_load_d16_b16 v13, v[1:2], off
.LBB52_6:                               ;   in Loop: Header=BB52_4 Depth=1
	s_wait_alu 0xfffe
	s_or_b32 exec_lo, exec_lo, s2
	v_add_co_u32 v14, vcc_lo, v6, s26
	s_wait_alu 0xfffd
	v_add_co_ci_u32_e64 v15, null, s27, v9, vcc_lo
	s_wait_loadcnt 0x0
	v_and_b32_e32 v13, 0xffff, v13
	s_delay_alu instid0(VALU_DEP_2)
	v_cmp_gt_u64_e64 s4, s[20:21], v[14:15]
	s_and_saveexec_b32 s2, s4
	s_cbranch_execz .LBB52_8
; %bb.7:                                ;   in Loop: Header=BB52_4 Depth=1
	global_load_d16_hi_b16 v13, v[3:4], off
.LBB52_8:                               ;   in Loop: Header=BB52_4 Depth=1
	s_wait_alu 0xfffe
	s_or_b32 exec_lo, exec_lo, s2
	v_add_co_u32 v14, vcc_lo, v10, s26
	s_wait_alu 0xfffd
	v_add_co_ci_u32_e64 v15, null, s27, v11, vcc_lo
	v_and_b32_e32 v12, 0xffff0000, v12
	s_delay_alu instid0(VALU_DEP_2)
	v_cmp_gt_u64_e32 vcc_lo, s[20:21], v[14:15]
	s_and_saveexec_b32 s5, vcc_lo
	s_cbranch_execz .LBB52_10
; %bb.9:                                ;   in Loop: Header=BB52_4 Depth=1
	v_add_co_u32 v14, s2, v1, s22
	s_wait_alu 0xf1ff
	v_add_co_ci_u32_e64 v15, null, 0, v2, s2
	global_load_d16_b16 v12, v[14:15], off
.LBB52_10:                              ;   in Loop: Header=BB52_4 Depth=1
	s_wait_alu 0xfffe
	s_or_b32 exec_lo, exec_lo, s5
	v_add_co_u32 v14, s2, v7, s26
	s_wait_alu 0xf1ff
	v_add_co_ci_u32_e64 v15, null, s27, v8, s2
	s_wait_loadcnt 0x0
	v_and_b32_e32 v12, 0xffff, v12
	s_delay_alu instid0(VALU_DEP_2)
	v_cmp_gt_u64_e64 s2, s[20:21], v[14:15]
	s_and_saveexec_b32 s6, s2
	s_cbranch_execz .LBB52_12
; %bb.11:                               ;   in Loop: Header=BB52_4 Depth=1
	v_add_co_u32 v14, s5, v1, s24
	s_wait_alu 0xf1ff
	v_add_co_ci_u32_e64 v15, null, s25, v2, s5
	global_load_d16_hi_b16 v12, v[14:15], off
.LBB52_12:                              ;   in Loop: Header=BB52_4 Depth=1
	s_wait_alu 0xfffe
	s_or_b32 exec_lo, exec_lo, s6
	global_load_u16 v14, v5, s[8:9]
	v_ashrrev_i32_e32 v15, 16, v13
	s_delay_alu instid0(VALU_DEP_1) | instskip(NEXT) | instid1(VALU_DEP_1)
	v_sub_nc_u32_e32 v17, 0, v15
	v_max_i32_e32 v15, v15, v17
	s_wait_loadcnt 0x0
	v_readfirstlane_b32 s5, v14
	s_mul_i32 s5, s5, s10
	s_wait_alu 0xfffe
	s_sext_i32_i16 s5, s5
	s_wait_alu 0xfffe
	s_abs_i32 s11, s5
	s_ashr_i32 s28, s5, 31
	s_wait_alu 0xfffe
	s_cvt_f32_u32 s6, s11
	s_wait_alu 0xfffe
	s_delay_alu instid0(SALU_CYCLE_2) | instskip(NEXT) | instid1(TRANS32_DEP_1)
	v_rcp_iflag_f32_e32 v14, s6
	v_readfirstlane_b32 s6, v14
	v_bfe_i32 v14, v13, 0, 16
	v_ashrrev_i32_e32 v13, 31, v13
	s_mul_f32 s6, s6, 0x4f7ffffe
	s_delay_alu instid0(VALU_DEP_2) | instskip(NEXT) | instid1(VALU_DEP_2)
	v_sub_nc_u32_e32 v16, 0, v14
	v_xor_b32_e32 v13, s28, v13
	s_wait_alu 0xfffe
	s_cvt_u32_f32 s29, s6
	s_sub_co_i32 s6, 0, s11
	v_max_i32_e32 v16, v14, v16
	v_ashrrev_i32_e32 v14, 31, v14
	s_wait_alu 0xfffe
	s_mul_i32 s6, s6, s29
	s_wait_alu 0xfffe
	s_mul_hi_u32 s6, s29, s6
	v_xor_b32_e32 v14, s28, v14
	s_wait_alu 0xfffe
	s_add_co_i32 s29, s29, s6
	s_wait_alu 0xfffe
	v_mul_hi_u32 v17, v16, s29
	v_mul_hi_u32 v18, v15, s29
	s_delay_alu instid0(VALU_DEP_2) | instskip(NEXT) | instid1(VALU_DEP_2)
	v_mul_u32_u24_e32 v19, s11, v17
	v_mul_u32_u24_e32 v20, s11, v18
	s_delay_alu instid0(VALU_DEP_2) | instskip(SKIP_1) | instid1(VALU_DEP_3)
	v_sub_nc_u32_e32 v16, v16, v19
	v_add_nc_u32_e32 v19, 1, v17
	v_sub_nc_u32_e32 v15, v15, v20
	v_add_nc_u32_e32 v20, 1, v18
	s_delay_alu instid0(VALU_DEP_4) | instskip(NEXT) | instid1(VALU_DEP_3)
	v_cmp_le_u32_e64 s5, s11, v16
	v_subrev_nc_u32_e32 v21, s11, v15
	v_cmp_le_u32_e64 s6, s11, v15
	s_wait_alu 0xf1ff
	s_delay_alu instid0(VALU_DEP_3) | instskip(SKIP_1) | instid1(VALU_DEP_3)
	v_cndmask_b32_e64 v17, v17, v19, s5
	v_subrev_nc_u32_e32 v19, s11, v16
	v_cndmask_b32_e64 v18, v18, v20, s6
	v_cndmask_b32_e64 v15, v15, v21, s6
	s_delay_alu instid0(VALU_DEP_3) | instskip(SKIP_1) | instid1(VALU_DEP_4)
	v_cndmask_b32_e64 v16, v16, v19, s5
	v_add_nc_u32_e32 v19, 1, v17
	v_add_nc_u32_e32 v20, 1, v18
	s_delay_alu instid0(VALU_DEP_3) | instskip(SKIP_1) | instid1(VALU_DEP_1)
	v_cmp_le_u32_e64 s5, s11, v16
	s_wait_alu 0xf1ff
	v_cndmask_b32_e64 v16, v17, v19, s5
	v_cmp_le_u32_e64 s5, s11, v15
	s_delay_alu instid0(VALU_DEP_2) | instskip(SKIP_1) | instid1(VALU_DEP_2)
	v_xor_b32_e32 v16, v16, v14
	s_wait_alu 0xf1ff
	v_cndmask_b32_e64 v15, v18, v20, s5
	s_delay_alu instid0(VALU_DEP_2) | instskip(NEXT) | instid1(VALU_DEP_2)
	v_sub_nc_u32_e32 v14, v16, v14
	v_xor_b32_e32 v15, v15, v13
	s_delay_alu instid0(VALU_DEP_1) | instskip(NEXT) | instid1(VALU_DEP_1)
	v_sub_nc_u32_e32 v13, v15, v13
	v_perm_b32 v13, v13, v14, 0x5040100
	s_and_saveexec_b32 s5, s3
	s_cbranch_execz .LBB52_14
; %bb.13:                               ;   in Loop: Header=BB52_4 Depth=1
	global_store_b16 v[1:2], v13, off
.LBB52_14:                              ;   in Loop: Header=BB52_4 Depth=1
	s_wait_alu 0xfffe
	s_or_b32 exec_lo, exec_lo, s5
	s_and_saveexec_b32 s3, s4
	s_cbranch_execz .LBB52_16
; %bb.15:                               ;   in Loop: Header=BB52_4 Depth=1
	global_store_d16_hi_b16 v[3:4], v13, off
.LBB52_16:                              ;   in Loop: Header=BB52_4 Depth=1
	s_wait_alu 0xfffe
	s_or_b32 exec_lo, exec_lo, s3
	v_bfe_i32 v14, v12, 0, 16
	v_ashrrev_i32_e32 v15, 16, v12
	v_ashrrev_i32_e32 v12, 31, v12
	s_delay_alu instid0(VALU_DEP_3) | instskip(NEXT) | instid1(VALU_DEP_3)
	v_sub_nc_u32_e32 v16, 0, v14
	v_sub_nc_u32_e32 v17, 0, v15
	s_delay_alu instid0(VALU_DEP_3) | instskip(NEXT) | instid1(VALU_DEP_3)
	v_xor_b32_e32 v12, s28, v12
	v_max_i32_e32 v16, v14, v16
	s_delay_alu instid0(VALU_DEP_3) | instskip(SKIP_1) | instid1(VALU_DEP_3)
	v_max_i32_e32 v15, v15, v17
	v_ashrrev_i32_e32 v14, 31, v14
	v_mul_hi_u32 v17, v16, s29
	s_delay_alu instid0(VALU_DEP_3) | instskip(NEXT) | instid1(VALU_DEP_3)
	v_mul_hi_u32 v18, v15, s29
	v_xor_b32_e32 v14, s28, v14
	s_delay_alu instid0(VALU_DEP_3) | instskip(NEXT) | instid1(VALU_DEP_3)
	v_mul_lo_u32 v19, v17, s11
	v_mul_lo_u32 v20, v18, s11
	s_delay_alu instid0(VALU_DEP_2) | instskip(SKIP_1) | instid1(VALU_DEP_3)
	v_sub_nc_u32_e32 v16, v16, v19
	v_add_nc_u32_e32 v19, 1, v17
	v_sub_nc_u32_e32 v15, v15, v20
	v_add_nc_u32_e32 v20, 1, v18
	s_delay_alu instid0(VALU_DEP_4) | instskip(NEXT) | instid1(VALU_DEP_3)
	v_cmp_le_u32_e64 s3, s11, v16
	v_subrev_nc_u32_e32 v21, s11, v15
	v_cmp_le_u32_e64 s4, s11, v15
	s_wait_alu 0xf1ff
	s_delay_alu instid0(VALU_DEP_3) | instskip(SKIP_1) | instid1(VALU_DEP_3)
	v_cndmask_b32_e64 v17, v17, v19, s3
	v_subrev_nc_u32_e32 v19, s11, v16
	v_cndmask_b32_e64 v18, v18, v20, s4
	v_cndmask_b32_e64 v15, v15, v21, s4
	s_delay_alu instid0(VALU_DEP_3) | instskip(SKIP_1) | instid1(VALU_DEP_4)
	v_cndmask_b32_e64 v16, v16, v19, s3
	v_add_nc_u32_e32 v19, 1, v17
	v_add_nc_u32_e32 v20, 1, v18
	s_delay_alu instid0(VALU_DEP_3) | instskip(SKIP_1) | instid1(VALU_DEP_1)
	v_cmp_le_u32_e64 s3, s11, v16
	s_wait_alu 0xf1ff
	v_cndmask_b32_e64 v16, v17, v19, s3
	v_cmp_le_u32_e64 s3, s11, v15
	s_delay_alu instid0(VALU_DEP_2) | instskip(SKIP_1) | instid1(VALU_DEP_2)
	v_xor_b32_e32 v16, v16, v14
	s_wait_alu 0xf1ff
	v_cndmask_b32_e64 v15, v18, v20, s3
	s_delay_alu instid0(VALU_DEP_2) | instskip(NEXT) | instid1(VALU_DEP_2)
	v_sub_nc_u32_e32 v14, v16, v14
	v_xor_b32_e32 v15, v15, v12
	s_delay_alu instid0(VALU_DEP_1) | instskip(NEXT) | instid1(VALU_DEP_1)
	v_sub_nc_u32_e32 v12, v15, v12
	v_perm_b32 v12, v12, v14, 0x5040100
	s_and_saveexec_b32 s3, vcc_lo
	s_cbranch_execz .LBB52_18
; %bb.17:                               ;   in Loop: Header=BB52_4 Depth=1
	v_add_co_u32 v14, vcc_lo, v1, s22
	s_wait_alu 0xfffd
	v_add_co_ci_u32_e64 v15, null, 0, v2, vcc_lo
	global_store_b16 v[14:15], v12, off
.LBB52_18:                              ;   in Loop: Header=BB52_4 Depth=1
	s_wait_alu 0xfffe
	s_or_b32 exec_lo, exec_lo, s3
	s_and_saveexec_b32 s3, s2
	s_cbranch_execz .LBB52_3
; %bb.19:                               ;   in Loop: Header=BB52_4 Depth=1
	v_add_co_u32 v14, vcc_lo, v1, s24
	s_wait_alu 0xfffd
	v_add_co_ci_u32_e64 v15, null, s25, v2, vcc_lo
	global_store_d16_hi_b16 v[14:15], v12, off
	s_branch .LBB52_3
.LBB52_20:
	s_cbranch_execz .LBB52_22
	s_branch .LBB52_25
.LBB52_21:
.LBB52_22:
	v_cmp_gt_i64_e64 s2, 0x10000, s[16:17]
	v_dual_mov_b32 v2, 0 :: v_dual_lshlrev_b32 v1, 2, v0
	s_mov_b32 s6, 0
	s_and_b32 s2, s2, exec_lo
	s_cselect_b32 s5, s17, 0
	s_cselect_b32 s4, s16, 0x10000
	s_mov_b32 s2, exec_lo
	s_wait_alu 0xfffe
	v_cmpx_gt_i64_e64 s[4:5], v[1:2]
	s_cbranch_execz .LBB52_25
; %bb.23:
	s_load_b32 s2, s[0:1], 0xd4c
	v_lshlrev_b32_e32 v3, 3, v0
	s_add_nc_u64 s[0:1], s[12:13], s[14:15]
	v_mov_b32_e32 v1, v2
	s_delay_alu instid0(VALU_DEP_2)
	v_add_co_u32 v3, s0, s0, v3
	s_wait_alu 0xf1ff
	v_add_co_ci_u32_e64 v4, null, s1, 0, s0
	s_wait_kmcnt 0x0
	s_and_b32 s7, s2, 0xffff
	s_wait_alu 0xfffe
	s_lshl_b32 s11, s7, 3
.LBB52_24:                              ; =>This Inner Loop Header: Depth=1
	global_load_u16 v9, v2, s[8:9]
	global_load_b64 v[5:6], v[3:4], off
	v_add_co_u32 v0, vcc_lo, v0, s7
	s_wait_alu 0xfffd
	v_add_co_ci_u32_e64 v1, null, 0, v1, vcc_lo
	s_delay_alu instid0(VALU_DEP_1) | instskip(NEXT) | instid1(VALU_DEP_1)
	v_lshlrev_b64_e32 v[7:8], 2, v[0:1]
	v_cmp_le_i64_e32 vcc_lo, s[4:5], v[7:8]
	s_wait_loadcnt 0x1
	v_readfirstlane_b32 s0, v9
	s_wait_loadcnt 0x0
	v_ashrrev_i32_e32 v7, 16, v5
	v_bfe_i32 v8, v5, 0, 16
	v_bfe_i32 v10, v6, 0, 16
	v_ashrrev_i32_e32 v5, 31, v5
	s_mul_i32 s0, s0, s10
	v_sub_nc_u32_e32 v13, 0, v7
	s_wait_alu 0xfffe
	s_sext_i32_i16 s0, s0
	v_sub_nc_u32_e32 v12, 0, v8
	s_wait_alu 0xfffe
	s_abs_i32 s12, s0
	s_ashr_i32 s1, s0, 31
	s_wait_alu 0xfffe
	s_cvt_f32_u32 s0, s12
	v_max_i32_e32 v7, v7, v13
	v_ashrrev_i32_e32 v9, 16, v6
	v_ashrrev_i32_e32 v6, 31, v6
	s_wait_alu 0xfffe
	v_rcp_iflag_f32_e32 v13, s0
	v_ashrrev_i32_e32 v11, 31, v8
	v_ashrrev_i32_e32 v14, 31, v10
	s_sub_co_i32 s2, 0, s12
	v_sub_nc_u32_e32 v15, 0, v10
	v_max_i32_e32 v8, v8, v12
	v_xor_b32_e32 v11, s1, v11
	v_xor_b32_e32 v5, s1, v5
	;; [unrolled: 1-line block ×4, first 2 shown]
	v_readfirstlane_b32 s0, v13
	v_sub_nc_u32_e32 v16, 0, v9
	v_max_i32_e32 v10, v10, v15
	s_mul_f32 s0, s0, 0x4f7ffffe
	s_delay_alu instid0(VALU_DEP_2) | instskip(SKIP_1) | instid1(SALU_CYCLE_1)
	v_max_i32_e32 v9, v9, v16
	s_wait_alu 0xfffe
	s_cvt_u32_f32 s0, s0
	s_wait_alu 0xfffe
	s_delay_alu instid0(SALU_CYCLE_2)
	s_mul_i32 s2, s2, s0
	s_wait_alu 0xfffe
	s_mul_hi_u32 s1, s0, s2
	s_wait_alu 0xfffe
	s_add_co_i32 s0, s0, s1
	s_or_b32 s6, vcc_lo, s6
	s_wait_alu 0xfffe
	v_mul_hi_u32 v13, v8, s0
	v_mul_hi_u32 v14, v7, s0
	;; [unrolled: 1-line block ×4, first 2 shown]
	s_delay_alu instid0(VALU_DEP_4) | instskip(NEXT) | instid1(VALU_DEP_4)
	v_mul_u32_u24_e32 v17, s12, v13
	v_mul_u32_u24_e32 v19, s12, v14
	s_delay_alu instid0(VALU_DEP_4)
	v_mul_u32_u24_e32 v21, s12, v15
	v_add_nc_u32_e32 v18, 1, v13
	v_mul_u32_u24_e32 v23, s12, v16
	v_sub_nc_u32_e32 v8, v8, v17
	v_sub_nc_u32_e32 v7, v7, v19
	;; [unrolled: 1-line block ×3, first 2 shown]
	v_add_nc_u32_e32 v20, 1, v14
	v_add_nc_u32_e32 v22, 1, v15
	v_cmp_le_u32_e64 s0, s12, v8
	v_subrev_nc_u32_e32 v17, s12, v8
	v_sub_nc_u32_e32 v9, v9, v23
	v_cmp_le_u32_e64 s1, s12, v7
	v_cmp_le_u32_e64 s2, s12, v10
	s_wait_alu 0xf1ff
	v_cndmask_b32_e64 v13, v13, v18, s0
	v_subrev_nc_u32_e32 v19, s12, v10
	v_cndmask_b32_e64 v8, v8, v17, s0
	v_add_nc_u32_e32 v24, 1, v16
	v_cndmask_b32_e64 v14, v14, v20, s1
	v_cndmask_b32_e64 v15, v15, v22, s2
	v_cmp_le_u32_e64 s3, s12, v9
	v_subrev_nc_u32_e32 v20, s12, v9
	v_add_nc_u32_e32 v17, 1, v13
	v_cndmask_b32_e64 v10, v10, v19, s2
	v_cmp_le_u32_e64 s0, s12, v8
	v_subrev_nc_u32_e32 v18, s12, v7
	s_wait_alu 0xf1ff
	v_cndmask_b32_e64 v16, v16, v24, s3
	v_add_nc_u32_e32 v19, 1, v15
	v_cndmask_b32_e64 v9, v9, v20, s3
	v_cndmask_b32_e64 v8, v13, v17, s0
	v_cmp_le_u32_e64 s0, s12, v10
	v_cndmask_b32_e64 v7, v7, v18, s1
	v_add_nc_u32_e32 v20, 1, v16
	v_add_nc_u32_e32 v18, 1, v14
	v_xor_b32_e32 v8, v8, v11
	s_wait_alu 0xf1ff
	v_cndmask_b32_e64 v10, v15, v19, s0
	v_cmp_le_u32_e64 s0, s12, v9
	s_delay_alu instid0(VALU_DEP_3) | instskip(NEXT) | instid1(VALU_DEP_3)
	v_sub_nc_u32_e32 v8, v8, v11
	v_xor_b32_e32 v10, v10, v12
	s_wait_alu 0xf1ff
	s_delay_alu instid0(VALU_DEP_3) | instskip(SKIP_1) | instid1(VALU_DEP_3)
	v_cndmask_b32_e64 v9, v16, v20, s0
	v_cmp_le_u32_e64 s0, s12, v7
	v_sub_nc_u32_e32 v10, v10, v12
	s_delay_alu instid0(VALU_DEP_3) | instskip(SKIP_1) | instid1(VALU_DEP_3)
	v_xor_b32_e32 v9, v9, v6
	s_wait_alu 0xf1ff
	v_cndmask_b32_e64 v7, v14, v18, s0
	s_delay_alu instid0(VALU_DEP_2) | instskip(NEXT) | instid1(VALU_DEP_2)
	v_sub_nc_u32_e32 v6, v9, v6
	v_xor_b32_e32 v7, v7, v5
	s_delay_alu instid0(VALU_DEP_2) | instskip(NEXT) | instid1(VALU_DEP_2)
	v_perm_b32 v6, v6, v10, 0x5040100
	v_sub_nc_u32_e32 v5, v7, v5
	s_delay_alu instid0(VALU_DEP_1)
	v_perm_b32 v5, v5, v8, 0x5040100
	global_store_b64 v[3:4], v[5:6], off
	v_add_co_u32 v3, s0, v3, s11
	s_wait_alu 0xf1ff
	v_add_co_ci_u32_e64 v4, null, 0, v4, s0
	s_and_not1_b32 exec_lo, exec_lo, s6
	s_cbranch_execnz .LBB52_24
.LBB52_25:
	s_endpgm
	.section	.rodata,"a",@progbits
	.p2align	6, 0x0
	.amdhsa_kernel _ZN2at6native12_GLOBAL__N_125multi_tensor_apply_kernelINS1_18TensorListMetadataILi1EEENS1_27BinaryOpScalarTensorFunctorIsLi1ELi1ELi0EEEJSt7dividesIsEPssEEEvT_T0_DpT1_
		.amdhsa_group_segment_fixed_size 0
		.amdhsa_private_segment_fixed_size 0
		.amdhsa_kernarg_size 3648
		.amdhsa_user_sgpr_count 2
		.amdhsa_user_sgpr_dispatch_ptr 0
		.amdhsa_user_sgpr_queue_ptr 0
		.amdhsa_user_sgpr_kernarg_segment_ptr 1
		.amdhsa_user_sgpr_dispatch_id 0
		.amdhsa_user_sgpr_private_segment_size 0
		.amdhsa_wavefront_size32 1
		.amdhsa_uses_dynamic_stack 0
		.amdhsa_enable_private_segment 0
		.amdhsa_system_sgpr_workgroup_id_x 1
		.amdhsa_system_sgpr_workgroup_id_y 0
		.amdhsa_system_sgpr_workgroup_id_z 0
		.amdhsa_system_sgpr_workgroup_info 0
		.amdhsa_system_vgpr_workitem_id 0
		.amdhsa_next_free_vgpr 25
		.amdhsa_next_free_sgpr 30
		.amdhsa_reserve_vcc 1
		.amdhsa_float_round_mode_32 0
		.amdhsa_float_round_mode_16_64 0
		.amdhsa_float_denorm_mode_32 3
		.amdhsa_float_denorm_mode_16_64 3
		.amdhsa_fp16_overflow 0
		.amdhsa_workgroup_processor_mode 1
		.amdhsa_memory_ordered 1
		.amdhsa_forward_progress 1
		.amdhsa_inst_pref_size 19
		.amdhsa_round_robin_scheduling 0
		.amdhsa_exception_fp_ieee_invalid_op 0
		.amdhsa_exception_fp_denorm_src 0
		.amdhsa_exception_fp_ieee_div_zero 0
		.amdhsa_exception_fp_ieee_overflow 0
		.amdhsa_exception_fp_ieee_underflow 0
		.amdhsa_exception_fp_ieee_inexact 0
		.amdhsa_exception_int_div_zero 0
	.end_amdhsa_kernel
	.section	.text._ZN2at6native12_GLOBAL__N_125multi_tensor_apply_kernelINS1_18TensorListMetadataILi1EEENS1_27BinaryOpScalarTensorFunctorIsLi1ELi1ELi0EEEJSt7dividesIsEPssEEEvT_T0_DpT1_,"axG",@progbits,_ZN2at6native12_GLOBAL__N_125multi_tensor_apply_kernelINS1_18TensorListMetadataILi1EEENS1_27BinaryOpScalarTensorFunctorIsLi1ELi1ELi0EEEJSt7dividesIsEPssEEEvT_T0_DpT1_,comdat
.Lfunc_end52:
	.size	_ZN2at6native12_GLOBAL__N_125multi_tensor_apply_kernelINS1_18TensorListMetadataILi1EEENS1_27BinaryOpScalarTensorFunctorIsLi1ELi1ELi0EEEJSt7dividesIsEPssEEEvT_T0_DpT1_, .Lfunc_end52-_ZN2at6native12_GLOBAL__N_125multi_tensor_apply_kernelINS1_18TensorListMetadataILi1EEENS1_27BinaryOpScalarTensorFunctorIsLi1ELi1ELi0EEEJSt7dividesIsEPssEEEvT_T0_DpT1_
                                        ; -- End function
	.set _ZN2at6native12_GLOBAL__N_125multi_tensor_apply_kernelINS1_18TensorListMetadataILi1EEENS1_27BinaryOpScalarTensorFunctorIsLi1ELi1ELi0EEEJSt7dividesIsEPssEEEvT_T0_DpT1_.num_vgpr, 25
	.set _ZN2at6native12_GLOBAL__N_125multi_tensor_apply_kernelINS1_18TensorListMetadataILi1EEENS1_27BinaryOpScalarTensorFunctorIsLi1ELi1ELi0EEEJSt7dividesIsEPssEEEvT_T0_DpT1_.num_agpr, 0
	.set _ZN2at6native12_GLOBAL__N_125multi_tensor_apply_kernelINS1_18TensorListMetadataILi1EEENS1_27BinaryOpScalarTensorFunctorIsLi1ELi1ELi0EEEJSt7dividesIsEPssEEEvT_T0_DpT1_.numbered_sgpr, 30
	.set _ZN2at6native12_GLOBAL__N_125multi_tensor_apply_kernelINS1_18TensorListMetadataILi1EEENS1_27BinaryOpScalarTensorFunctorIsLi1ELi1ELi0EEEJSt7dividesIsEPssEEEvT_T0_DpT1_.num_named_barrier, 0
	.set _ZN2at6native12_GLOBAL__N_125multi_tensor_apply_kernelINS1_18TensorListMetadataILi1EEENS1_27BinaryOpScalarTensorFunctorIsLi1ELi1ELi0EEEJSt7dividesIsEPssEEEvT_T0_DpT1_.private_seg_size, 0
	.set _ZN2at6native12_GLOBAL__N_125multi_tensor_apply_kernelINS1_18TensorListMetadataILi1EEENS1_27BinaryOpScalarTensorFunctorIsLi1ELi1ELi0EEEJSt7dividesIsEPssEEEvT_T0_DpT1_.uses_vcc, 1
	.set _ZN2at6native12_GLOBAL__N_125multi_tensor_apply_kernelINS1_18TensorListMetadataILi1EEENS1_27BinaryOpScalarTensorFunctorIsLi1ELi1ELi0EEEJSt7dividesIsEPssEEEvT_T0_DpT1_.uses_flat_scratch, 0
	.set _ZN2at6native12_GLOBAL__N_125multi_tensor_apply_kernelINS1_18TensorListMetadataILi1EEENS1_27BinaryOpScalarTensorFunctorIsLi1ELi1ELi0EEEJSt7dividesIsEPssEEEvT_T0_DpT1_.has_dyn_sized_stack, 0
	.set _ZN2at6native12_GLOBAL__N_125multi_tensor_apply_kernelINS1_18TensorListMetadataILi1EEENS1_27BinaryOpScalarTensorFunctorIsLi1ELi1ELi0EEEJSt7dividesIsEPssEEEvT_T0_DpT1_.has_recursion, 0
	.set _ZN2at6native12_GLOBAL__N_125multi_tensor_apply_kernelINS1_18TensorListMetadataILi1EEENS1_27BinaryOpScalarTensorFunctorIsLi1ELi1ELi0EEEJSt7dividesIsEPssEEEvT_T0_DpT1_.has_indirect_call, 0
	.section	.AMDGPU.csdata,"",@progbits
; Kernel info:
; codeLenInByte = 2384
; TotalNumSgprs: 32
; NumVgprs: 25
; ScratchSize: 0
; MemoryBound: 0
; FloatMode: 240
; IeeeMode: 1
; LDSByteSize: 0 bytes/workgroup (compile time only)
; SGPRBlocks: 0
; VGPRBlocks: 3
; NumSGPRsForWavesPerEU: 32
; NumVGPRsForWavesPerEU: 25
; Occupancy: 16
; WaveLimiterHint : 0
; COMPUTE_PGM_RSRC2:SCRATCH_EN: 0
; COMPUTE_PGM_RSRC2:USER_SGPR: 2
; COMPUTE_PGM_RSRC2:TRAP_HANDLER: 0
; COMPUTE_PGM_RSRC2:TGID_X_EN: 1
; COMPUTE_PGM_RSRC2:TGID_Y_EN: 0
; COMPUTE_PGM_RSRC2:TGID_Z_EN: 0
; COMPUTE_PGM_RSRC2:TIDIG_COMP_CNT: 0
	.section	.text._ZN2at6native12_GLOBAL__N_125multi_tensor_apply_kernelINS1_18TensorListMetadataILi1EEENS1_27BinaryOpScalarTensorFunctorIdLi1ELi1ELi0EEEJSt7dividesIdEPddEEEvT_T0_DpT1_,"axG",@progbits,_ZN2at6native12_GLOBAL__N_125multi_tensor_apply_kernelINS1_18TensorListMetadataILi1EEENS1_27BinaryOpScalarTensorFunctorIdLi1ELi1ELi0EEEJSt7dividesIdEPddEEEvT_T0_DpT1_,comdat
	.globl	_ZN2at6native12_GLOBAL__N_125multi_tensor_apply_kernelINS1_18TensorListMetadataILi1EEENS1_27BinaryOpScalarTensorFunctorIdLi1ELi1ELi0EEEJSt7dividesIdEPddEEEvT_T0_DpT1_ ; -- Begin function _ZN2at6native12_GLOBAL__N_125multi_tensor_apply_kernelINS1_18TensorListMetadataILi1EEENS1_27BinaryOpScalarTensorFunctorIdLi1ELi1ELi0EEEJSt7dividesIdEPddEEEvT_T0_DpT1_
	.p2align	8
	.type	_ZN2at6native12_GLOBAL__N_125multi_tensor_apply_kernelINS1_18TensorListMetadataILi1EEENS1_27BinaryOpScalarTensorFunctorIdLi1ELi1ELi0EEEJSt7dividesIdEPddEEEvT_T0_DpT1_,@function
_ZN2at6native12_GLOBAL__N_125multi_tensor_apply_kernelINS1_18TensorListMetadataILi1EEENS1_27BinaryOpScalarTensorFunctorIdLi1ELi1ELi0EEEJSt7dividesIdEPddEEEvT_T0_DpT1_: ; @_ZN2at6native12_GLOBAL__N_125multi_tensor_apply_kernelINS1_18TensorListMetadataILi1EEENS1_27BinaryOpScalarTensorFunctorIdLi1ELi1ELi0EEEJSt7dividesIdEPddEEEvT_T0_DpT1_
; %bb.0:
	s_mov_b32 s2, ttmp9
	s_mov_b32 s3, 0
	s_delay_alu instid0(SALU_CYCLE_1)
	s_mul_u64 s[4:5], s[2:3], 3
	s_add_nc_u64 s[6:7], s[0:1], s[2:3]
	s_mov_b32 s17, s3
	s_add_nc_u64 s[4:5], s[6:7], s[4:5]
	s_clause 0x1
	s_load_b32 s4, s[4:5], 0x820
	s_load_u8 s2, s[0:1], ttmp9 offset:0x6e0
	s_wait_kmcnt 0x0
	s_ashr_i32 s5, s4, 31
	s_lshl_b32 s2, s2, 3
	s_clause 0x2
	s_load_b64 s[6:7], s[0:1], s2 offset:0x0
	s_load_b64 s[14:15], s[0:1], s2 offset:0x370
	s_load_b128 s[8:11], s[0:1], 0xd30
	s_lshl_b64 s[12:13], s[4:5], 19
	s_lshl_b64 s[4:5], s[4:5], 16
	s_wait_kmcnt 0x0
	s_and_b32 s2, s6, 31
	s_and_b32 s16, s14, 3
	s_sub_nc_u64 s[14:15], s[14:15], s[4:5]
	s_or_b64 s[2:3], s[2:3], s[16:17]
	s_delay_alu instid0(SALU_CYCLE_1)
	s_cmp_eq_u64 s[2:3], 0
	s_cbranch_scc1 .LBB53_21
; %bb.1:
	v_cmp_lt_i64_e64 s2, s[14:15], 1
	s_and_b32 vcc_lo, exec_lo, s2
	s_cbranch_vccnz .LBB53_20
; %bb.2:
	s_load_b32 s2, s[0:1], 0xd4c
	v_cmp_gt_i64_e64 s16, 0x10000, s[14:15]
	v_lshlrev_b32_e32 v1, 3, v0
	s_add_nc_u64 s[4:5], s[6:7], s[12:13]
	s_mov_b32 s3, 0
	v_cmp_gt_u64_e64 s20, 0x10000, s[14:15]
	s_mov_b32 s17, s3
	v_add_co_u32 v1, s18, s4, v1
	s_and_b32 s16, s16, exec_lo
	v_add_co_ci_u32_e64 v2, null, s5, 0, s18
	s_cselect_b32 s19, s15, 0
	s_cselect_b32 s18, s14, 0x10000
	v_mov_b32_e32 v15, 0
	s_wait_kmcnt 0x0
	s_and_b32 s2, s2, 0xffff
	s_and_b32 s16, s20, exec_lo
	s_mul_u64 s[22:23], s[2:3], 24
	v_add_co_u32 v16, s3, v0, s2
	s_cselect_b32 s21, s15, 0
	s_cselect_b32 s20, s14, 0x10000
	s_lshl_b32 s24, s2, 1
	v_lshlrev_b32_e32 v3, 3, v16
	s_mul_i32 s25, s2, 3
	v_add_co_ci_u32_e64 v19, null, 0, 0, s3
	v_add_co_u32 v20, s3, s24, v0
	v_add_co_u32 v17, s25, s25, v0
	s_wait_alu 0xf1ff
	v_add_co_ci_u32_e64 v21, null, 0, 0, s3
	v_add_co_u32 v3, s3, s4, v3
	v_add_co_ci_u32_e64 v18, null, 0, 0, s25
	s_wait_alu 0xf1ff
	v_add_co_ci_u32_e64 v4, null, s5, 0, s3
	s_lshl_b32 s16, s2, 2
	s_lshl_b32 s26, s2, 5
	;; [unrolled: 1-line block ×3, first 2 shown]
	s_mov_b64 s[24:25], 0
	s_branch .LBB53_4
.LBB53_3:                               ;   in Loop: Header=BB53_4 Depth=1
	s_wait_alu 0xfffe
	s_or_b32 exec_lo, exec_lo, s3
	s_add_nc_u64 s[24:25], s[24:25], s[16:17]
	v_add_co_u32 v1, vcc_lo, v1, s26
	s_wait_alu 0xfffe
	v_cmp_lt_i64_e64 s2, s[24:25], s[18:19]
	s_wait_alu 0xfffd
	v_add_co_ci_u32_e64 v2, null, 0, v2, vcc_lo
	v_add_co_u32 v3, vcc_lo, v3, s26
	s_wait_alu 0xfffd
	v_add_co_ci_u32_e64 v4, null, 0, v4, vcc_lo
	s_and_b32 vcc_lo, exec_lo, s2
	s_wait_alu 0xfffe
	s_cbranch_vccz .LBB53_20
.LBB53_4:                               ; =>This Inner Loop Header: Depth=1
	s_wait_alu 0xfffe
	v_add_co_u32 v5, s2, v0, s24
	s_wait_alu 0xf1ff
	v_add_co_ci_u32_e64 v6, null, 0, s25, s2
	v_mov_b32_e32 v7, 0
	v_dual_mov_b32 v8, 0 :: v_dual_mov_b32 v11, 0
	s_delay_alu instid0(VALU_DEP_3)
	v_cmp_gt_u64_e32 vcc_lo, s[20:21], v[5:6]
	v_mov_b32_e32 v12, 0
	s_and_saveexec_b32 s2, vcc_lo
	s_cbranch_execz .LBB53_6
; %bb.5:                                ;   in Loop: Header=BB53_4 Depth=1
	global_load_b64 v[11:12], v[1:2], off
.LBB53_6:                               ;   in Loop: Header=BB53_4 Depth=1
	s_wait_alu 0xfffe
	s_or_b32 exec_lo, exec_lo, s2
	v_add_co_u32 v5, s2, v16, s24
	s_wait_alu 0xf1ff
	v_add_co_ci_u32_e64 v6, null, s25, v19, s2
	s_delay_alu instid0(VALU_DEP_1)
	v_cmp_gt_u64_e64 s4, s[20:21], v[5:6]
	s_and_saveexec_b32 s2, s4
	s_cbranch_execz .LBB53_8
; %bb.7:                                ;   in Loop: Header=BB53_4 Depth=1
	global_load_b64 v[7:8], v[3:4], off
.LBB53_8:                               ;   in Loop: Header=BB53_4 Depth=1
	s_wait_alu 0xfffe
	s_or_b32 exec_lo, exec_lo, s2
	v_add_co_u32 v9, s2, v20, s24
	s_wait_alu 0xf1ff
	v_add_co_ci_u32_e64 v10, null, s25, v21, s2
	v_mov_b32_e32 v5, 0
	v_mov_b32_e32 v6, 0
	s_delay_alu instid0(VALU_DEP_3)
	v_cmp_gt_u64_e64 s3, s[20:21], v[9:10]
	v_mov_b32_e32 v9, 0
	v_mov_b32_e32 v10, 0
	s_and_saveexec_b32 s5, s3
	s_cbranch_execz .LBB53_10
; %bb.9:                                ;   in Loop: Header=BB53_4 Depth=1
	v_add_co_u32 v9, s2, v1, s27
	s_wait_alu 0xf1ff
	v_add_co_ci_u32_e64 v10, null, 0, v2, s2
	global_load_b64 v[9:10], v[9:10], off
.LBB53_10:                              ;   in Loop: Header=BB53_4 Depth=1
	s_wait_alu 0xfffe
	s_or_b32 exec_lo, exec_lo, s5
	v_add_co_u32 v13, s2, v17, s24
	s_wait_alu 0xf1ff
	v_add_co_ci_u32_e64 v14, null, s25, v18, s2
	s_delay_alu instid0(VALU_DEP_1)
	v_cmp_gt_u64_e64 s2, s[20:21], v[13:14]
	s_and_saveexec_b32 s28, s2
	s_cbranch_execz .LBB53_12
; %bb.11:                               ;   in Loop: Header=BB53_4 Depth=1
	v_add_co_u32 v5, s5, v1, s22
	s_wait_alu 0xf1ff
	v_add_co_ci_u32_e64 v6, null, s23, v2, s5
	global_load_b64 v[5:6], v[5:6], off
.LBB53_12:                              ;   in Loop: Header=BB53_4 Depth=1
	s_or_b32 exec_lo, exec_lo, s28
	global_load_b64 v[13:14], v15, s[8:9]
	s_wait_loadcnt 0x0
	v_mul_f64_e32 v[13:14], s[10:11], v[13:14]
	s_and_saveexec_b32 s5, vcc_lo
	s_cbranch_execnz .LBB53_16
; %bb.13:                               ;   in Loop: Header=BB53_4 Depth=1
	s_wait_alu 0xfffe
	s_or_b32 exec_lo, exec_lo, s5
	s_and_saveexec_b32 s5, s4
	s_cbranch_execnz .LBB53_17
.LBB53_14:                              ;   in Loop: Header=BB53_4 Depth=1
	s_wait_alu 0xfffe
	s_or_b32 exec_lo, exec_lo, s5
	s_and_saveexec_b32 s4, s3
	s_cbranch_execnz .LBB53_18
.LBB53_15:                              ;   in Loop: Header=BB53_4 Depth=1
	s_wait_alu 0xfffe
	s_or_b32 exec_lo, exec_lo, s4
	s_and_saveexec_b32 s3, s2
	s_cbranch_execz .LBB53_3
	s_branch .LBB53_19
.LBB53_16:                              ;   in Loop: Header=BB53_4 Depth=1
	s_delay_alu instid0(VALU_DEP_1) | instskip(NEXT) | instid1(VALU_DEP_1)
	v_div_scale_f64 v[22:23], null, v[13:14], v[13:14], v[11:12]
	v_rcp_f64_e32 v[24:25], v[22:23]
	s_delay_alu instid0(TRANS32_DEP_1) | instskip(NEXT) | instid1(VALU_DEP_1)
	v_fma_f64 v[26:27], -v[22:23], v[24:25], 1.0
	v_fma_f64 v[24:25], v[24:25], v[26:27], v[24:25]
	s_delay_alu instid0(VALU_DEP_1) | instskip(NEXT) | instid1(VALU_DEP_1)
	v_fma_f64 v[26:27], -v[22:23], v[24:25], 1.0
	v_fma_f64 v[24:25], v[24:25], v[26:27], v[24:25]
	v_div_scale_f64 v[26:27], vcc_lo, v[11:12], v[13:14], v[11:12]
	s_delay_alu instid0(VALU_DEP_1) | instskip(NEXT) | instid1(VALU_DEP_1)
	v_mul_f64_e32 v[28:29], v[26:27], v[24:25]
	v_fma_f64 v[22:23], -v[22:23], v[28:29], v[26:27]
	s_wait_alu 0xfffd
	s_delay_alu instid0(VALU_DEP_1) | instskip(NEXT) | instid1(VALU_DEP_1)
	v_div_fmas_f64 v[22:23], v[22:23], v[24:25], v[28:29]
	v_div_fixup_f64 v[11:12], v[22:23], v[13:14], v[11:12]
	global_store_b64 v[1:2], v[11:12], off
	s_wait_alu 0xfffe
	s_or_b32 exec_lo, exec_lo, s5
	s_and_saveexec_b32 s5, s4
	s_cbranch_execz .LBB53_14
.LBB53_17:                              ;   in Loop: Header=BB53_4 Depth=1
	s_delay_alu instid0(VALU_DEP_1) | instskip(NEXT) | instid1(VALU_DEP_1)
	v_div_scale_f64 v[11:12], null, v[13:14], v[13:14], v[7:8]
	v_rcp_f64_e32 v[22:23], v[11:12]
	s_delay_alu instid0(TRANS32_DEP_1) | instskip(NEXT) | instid1(VALU_DEP_1)
	v_fma_f64 v[24:25], -v[11:12], v[22:23], 1.0
	v_fma_f64 v[22:23], v[22:23], v[24:25], v[22:23]
	s_delay_alu instid0(VALU_DEP_1) | instskip(NEXT) | instid1(VALU_DEP_1)
	v_fma_f64 v[24:25], -v[11:12], v[22:23], 1.0
	v_fma_f64 v[22:23], v[22:23], v[24:25], v[22:23]
	v_div_scale_f64 v[24:25], vcc_lo, v[7:8], v[13:14], v[7:8]
	s_delay_alu instid0(VALU_DEP_1) | instskip(NEXT) | instid1(VALU_DEP_1)
	v_mul_f64_e32 v[26:27], v[24:25], v[22:23]
	v_fma_f64 v[11:12], -v[11:12], v[26:27], v[24:25]
	s_wait_alu 0xfffd
	s_delay_alu instid0(VALU_DEP_1) | instskip(NEXT) | instid1(VALU_DEP_1)
	v_div_fmas_f64 v[11:12], v[11:12], v[22:23], v[26:27]
	v_div_fixup_f64 v[7:8], v[11:12], v[13:14], v[7:8]
	global_store_b64 v[3:4], v[7:8], off
	s_wait_alu 0xfffe
	s_or_b32 exec_lo, exec_lo, s5
	s_and_saveexec_b32 s4, s3
	s_cbranch_execz .LBB53_15
.LBB53_18:                              ;   in Loop: Header=BB53_4 Depth=1
	s_delay_alu instid0(VALU_DEP_1) | instskip(NEXT) | instid1(VALU_DEP_1)
	v_div_scale_f64 v[7:8], null, v[13:14], v[13:14], v[9:10]
	v_rcp_f64_e32 v[11:12], v[7:8]
	s_delay_alu instid0(TRANS32_DEP_1) | instskip(NEXT) | instid1(VALU_DEP_1)
	v_fma_f64 v[22:23], -v[7:8], v[11:12], 1.0
	v_fma_f64 v[11:12], v[11:12], v[22:23], v[11:12]
	s_delay_alu instid0(VALU_DEP_1) | instskip(NEXT) | instid1(VALU_DEP_1)
	v_fma_f64 v[22:23], -v[7:8], v[11:12], 1.0
	v_fma_f64 v[11:12], v[11:12], v[22:23], v[11:12]
	v_div_scale_f64 v[22:23], vcc_lo, v[9:10], v[13:14], v[9:10]
	s_delay_alu instid0(VALU_DEP_1) | instskip(NEXT) | instid1(VALU_DEP_1)
	v_mul_f64_e32 v[24:25], v[22:23], v[11:12]
	v_fma_f64 v[7:8], -v[7:8], v[24:25], v[22:23]
	s_wait_alu 0xfffd
	s_delay_alu instid0(VALU_DEP_1) | instskip(NEXT) | instid1(VALU_DEP_1)
	v_div_fmas_f64 v[7:8], v[7:8], v[11:12], v[24:25]
	v_div_fixup_f64 v[7:8], v[7:8], v[13:14], v[9:10]
	v_add_co_u32 v9, vcc_lo, v1, s27
	s_wait_alu 0xfffd
	v_add_co_ci_u32_e64 v10, null, 0, v2, vcc_lo
	global_store_b64 v[9:10], v[7:8], off
	s_wait_alu 0xfffe
	s_or_b32 exec_lo, exec_lo, s4
	s_and_saveexec_b32 s3, s2
	s_cbranch_execz .LBB53_3
.LBB53_19:                              ;   in Loop: Header=BB53_4 Depth=1
	s_delay_alu instid0(VALU_DEP_1) | instskip(NEXT) | instid1(VALU_DEP_1)
	v_div_scale_f64 v[7:8], null, v[13:14], v[13:14], v[5:6]
	v_rcp_f64_e32 v[9:10], v[7:8]
	s_delay_alu instid0(TRANS32_DEP_1) | instskip(NEXT) | instid1(VALU_DEP_1)
	v_fma_f64 v[11:12], -v[7:8], v[9:10], 1.0
	v_fma_f64 v[9:10], v[9:10], v[11:12], v[9:10]
	s_delay_alu instid0(VALU_DEP_1) | instskip(NEXT) | instid1(VALU_DEP_1)
	v_fma_f64 v[11:12], -v[7:8], v[9:10], 1.0
	v_fma_f64 v[9:10], v[9:10], v[11:12], v[9:10]
	v_div_scale_f64 v[11:12], vcc_lo, v[5:6], v[13:14], v[5:6]
	s_delay_alu instid0(VALU_DEP_1) | instskip(NEXT) | instid1(VALU_DEP_1)
	v_mul_f64_e32 v[22:23], v[11:12], v[9:10]
	v_fma_f64 v[7:8], -v[7:8], v[22:23], v[11:12]
	s_wait_alu 0xfffd
	s_delay_alu instid0(VALU_DEP_1) | instskip(NEXT) | instid1(VALU_DEP_1)
	v_div_fmas_f64 v[7:8], v[7:8], v[9:10], v[22:23]
	v_div_fixup_f64 v[5:6], v[7:8], v[13:14], v[5:6]
	v_add_co_u32 v7, vcc_lo, v1, s22
	s_wait_alu 0xfffd
	v_add_co_ci_u32_e64 v8, null, s23, v2, vcc_lo
	global_store_b64 v[7:8], v[5:6], off
	s_branch .LBB53_3
.LBB53_20:
	s_cbranch_execz .LBB53_22
	s_branch .LBB53_25
.LBB53_21:
.LBB53_22:
	v_cmp_gt_i64_e64 s2, 0x10000, s[14:15]
	v_dual_mov_b32 v2, 0 :: v_dual_lshlrev_b32 v1, 2, v0
	s_mov_b32 s3, 0
	s_and_b32 s2, s2, exec_lo
	s_cselect_b32 s5, s15, 0
	s_cselect_b32 s4, s14, 0x10000
	s_mov_b32 s2, exec_lo
	s_wait_alu 0xfffe
	v_cmpx_gt_i64_e64 s[4:5], v[1:2]
	s_cbranch_execz .LBB53_25
; %bb.23:
	s_load_b32 s2, s[0:1], 0xd4c
	v_lshlrev_b32_e32 v1, 5, v0
	s_add_nc_u64 s[0:1], s[6:7], s[12:13]
	s_delay_alu instid0(VALU_DEP_1) | instid1(SALU_CYCLE_1)
	v_add_co_u32 v3, s0, s0, v1
	s_wait_alu 0xf1ff
	v_add_co_ci_u32_e64 v4, null, s1, 0, s0
	v_mov_b32_e32 v1, v2
	s_delay_alu instid0(VALU_DEP_3) | instskip(SKIP_1) | instid1(VALU_DEP_3)
	v_add_co_u32 v3, vcc_lo, v3, 16
	s_wait_alu 0xfffd
	v_add_co_ci_u32_e64 v4, null, 0, v4, vcc_lo
	s_wait_kmcnt 0x0
	s_and_b32 s6, s2, 0xffff
	s_delay_alu instid0(SALU_CYCLE_1)
	s_lshl_b32 s7, s6, 5
.LBB53_24:                              ; =>This Inner Loop Header: Depth=1
	global_load_b64 v[13:14], v2, s[8:9]
	s_clause 0x1
	global_load_b128 v[5:8], v[3:4], off offset:-16
	global_load_b128 v[9:12], v[3:4], off
	s_wait_loadcnt 0x2
	v_mul_f64_e32 v[13:14], s[10:11], v[13:14]
	s_wait_loadcnt 0x1
	s_delay_alu instid0(VALU_DEP_1)
	v_div_scale_f64 v[15:16], null, v[13:14], v[13:14], v[5:6]
	v_div_scale_f64 v[17:18], null, v[13:14], v[13:14], v[7:8]
	s_wait_loadcnt 0x0
	v_div_scale_f64 v[19:20], null, v[13:14], v[13:14], v[9:10]
	v_div_scale_f64 v[21:22], null, v[13:14], v[13:14], v[11:12]
	v_div_scale_f64 v[39:40], vcc_lo, v[5:6], v[13:14], v[5:6]
	v_div_scale_f64 v[41:42], s0, v[7:8], v[13:14], v[7:8]
	v_div_scale_f64 v[43:44], s1, v[9:10], v[13:14], v[9:10]
	;; [unrolled: 1-line block ×3, first 2 shown]
	v_rcp_f64_e32 v[23:24], v[15:16]
	v_rcp_f64_e32 v[25:26], v[17:18]
	;; [unrolled: 1-line block ×4, first 2 shown]
	v_fma_f64 v[31:32], -v[15:16], v[23:24], 1.0
	s_delay_alu instid0(TRANS32_DEP_3) | instskip(NEXT) | instid1(TRANS32_DEP_2)
	v_fma_f64 v[33:34], -v[17:18], v[25:26], 1.0
	v_fma_f64 v[35:36], -v[19:20], v[27:28], 1.0
	s_delay_alu instid0(TRANS32_DEP_1) | instskip(NEXT) | instid1(VALU_DEP_4)
	v_fma_f64 v[37:38], -v[21:22], v[29:30], 1.0
	v_fma_f64 v[23:24], v[23:24], v[31:32], v[23:24]
	s_delay_alu instid0(VALU_DEP_4) | instskip(NEXT) | instid1(VALU_DEP_4)
	v_fma_f64 v[25:26], v[25:26], v[33:34], v[25:26]
	v_fma_f64 v[27:28], v[27:28], v[35:36], v[27:28]
	s_delay_alu instid0(VALU_DEP_4) | instskip(NEXT) | instid1(VALU_DEP_4)
	v_fma_f64 v[29:30], v[29:30], v[37:38], v[29:30]
	v_fma_f64 v[31:32], -v[15:16], v[23:24], 1.0
	s_delay_alu instid0(VALU_DEP_4) | instskip(NEXT) | instid1(VALU_DEP_4)
	v_fma_f64 v[33:34], -v[17:18], v[25:26], 1.0
	v_fma_f64 v[35:36], -v[19:20], v[27:28], 1.0
	s_delay_alu instid0(VALU_DEP_4) | instskip(NEXT) | instid1(VALU_DEP_4)
	v_fma_f64 v[37:38], -v[21:22], v[29:30], 1.0
	v_fma_f64 v[23:24], v[23:24], v[31:32], v[23:24]
	s_delay_alu instid0(VALU_DEP_4) | instskip(NEXT) | instid1(VALU_DEP_4)
	v_fma_f64 v[25:26], v[25:26], v[33:34], v[25:26]
	v_fma_f64 v[27:28], v[27:28], v[35:36], v[27:28]
	s_delay_alu instid0(VALU_DEP_4) | instskip(NEXT) | instid1(VALU_DEP_4)
	v_fma_f64 v[29:30], v[29:30], v[37:38], v[29:30]
	v_mul_f64_e32 v[31:32], v[39:40], v[23:24]
	s_delay_alu instid0(VALU_DEP_4) | instskip(NEXT) | instid1(VALU_DEP_4)
	v_mul_f64_e32 v[33:34], v[41:42], v[25:26]
	v_mul_f64_e32 v[35:36], v[43:44], v[27:28]
	s_delay_alu instid0(VALU_DEP_4) | instskip(NEXT) | instid1(VALU_DEP_4)
	v_mul_f64_e32 v[37:38], v[45:46], v[29:30]
	v_fma_f64 v[15:16], -v[15:16], v[31:32], v[39:40]
	s_delay_alu instid0(VALU_DEP_4) | instskip(NEXT) | instid1(VALU_DEP_4)
	v_fma_f64 v[17:18], -v[17:18], v[33:34], v[41:42]
	v_fma_f64 v[19:20], -v[19:20], v[35:36], v[43:44]
	s_delay_alu instid0(VALU_DEP_4) | instskip(SKIP_1) | instid1(VALU_DEP_4)
	v_fma_f64 v[21:22], -v[21:22], v[37:38], v[45:46]
	s_wait_alu 0xfffd
	v_div_fmas_f64 v[15:16], v[15:16], v[23:24], v[31:32]
	s_mov_b32 vcc_lo, s0
	s_wait_alu 0xfffe
	s_delay_alu instid0(VALU_DEP_4) | instskip(SKIP_2) | instid1(VALU_DEP_4)
	v_div_fmas_f64 v[17:18], v[17:18], v[25:26], v[33:34]
	s_mov_b32 vcc_lo, s1
	s_wait_alu 0xfffe
	v_div_fmas_f64 v[19:20], v[19:20], v[27:28], v[35:36]
	s_mov_b32 vcc_lo, s2
	s_wait_alu 0xfffe
	s_delay_alu instid0(VALU_DEP_4)
	v_div_fmas_f64 v[21:22], v[21:22], v[29:30], v[37:38]
	v_add_co_u32 v0, vcc_lo, v0, s6
	s_wait_alu 0xfffd
	v_add_co_ci_u32_e64 v1, null, 0, v1, vcc_lo
	v_div_fixup_f64 v[5:6], v[15:16], v[13:14], v[5:6]
	v_div_fixup_f64 v[7:8], v[17:18], v[13:14], v[7:8]
	;; [unrolled: 1-line block ×4, first 2 shown]
	v_lshlrev_b64_e32 v[13:14], 2, v[0:1]
	s_clause 0x1
	global_store_b128 v[3:4], v[5:8], off offset:-16
	global_store_b128 v[3:4], v[9:12], off
	v_cmp_le_i64_e32 vcc_lo, s[4:5], v[13:14]
	v_add_co_u32 v3, s0, v3, s7
	s_wait_alu 0xf1ff
	v_add_co_ci_u32_e64 v4, null, 0, v4, s0
	s_or_b32 s3, vcc_lo, s3
	s_wait_alu 0xfffe
	s_and_not1_b32 exec_lo, exec_lo, s3
	s_cbranch_execnz .LBB53_24
.LBB53_25:
	s_endpgm
	.section	.rodata,"a",@progbits
	.p2align	6, 0x0
	.amdhsa_kernel _ZN2at6native12_GLOBAL__N_125multi_tensor_apply_kernelINS1_18TensorListMetadataILi1EEENS1_27BinaryOpScalarTensorFunctorIdLi1ELi1ELi0EEEJSt7dividesIdEPddEEEvT_T0_DpT1_
		.amdhsa_group_segment_fixed_size 0
		.amdhsa_private_segment_fixed_size 0
		.amdhsa_kernarg_size 3648
		.amdhsa_user_sgpr_count 2
		.amdhsa_user_sgpr_dispatch_ptr 0
		.amdhsa_user_sgpr_queue_ptr 0
		.amdhsa_user_sgpr_kernarg_segment_ptr 1
		.amdhsa_user_sgpr_dispatch_id 0
		.amdhsa_user_sgpr_private_segment_size 0
		.amdhsa_wavefront_size32 1
		.amdhsa_uses_dynamic_stack 0
		.amdhsa_enable_private_segment 0
		.amdhsa_system_sgpr_workgroup_id_x 1
		.amdhsa_system_sgpr_workgroup_id_y 0
		.amdhsa_system_sgpr_workgroup_id_z 0
		.amdhsa_system_sgpr_workgroup_info 0
		.amdhsa_system_vgpr_workitem_id 0
		.amdhsa_next_free_vgpr 47
		.amdhsa_next_free_sgpr 29
		.amdhsa_reserve_vcc 1
		.amdhsa_float_round_mode_32 0
		.amdhsa_float_round_mode_16_64 0
		.amdhsa_float_denorm_mode_32 3
		.amdhsa_float_denorm_mode_16_64 3
		.amdhsa_fp16_overflow 0
		.amdhsa_workgroup_processor_mode 1
		.amdhsa_memory_ordered 1
		.amdhsa_forward_progress 1
		.amdhsa_inst_pref_size 17
		.amdhsa_round_robin_scheduling 0
		.amdhsa_exception_fp_ieee_invalid_op 0
		.amdhsa_exception_fp_denorm_src 0
		.amdhsa_exception_fp_ieee_div_zero 0
		.amdhsa_exception_fp_ieee_overflow 0
		.amdhsa_exception_fp_ieee_underflow 0
		.amdhsa_exception_fp_ieee_inexact 0
		.amdhsa_exception_int_div_zero 0
	.end_amdhsa_kernel
	.section	.text._ZN2at6native12_GLOBAL__N_125multi_tensor_apply_kernelINS1_18TensorListMetadataILi1EEENS1_27BinaryOpScalarTensorFunctorIdLi1ELi1ELi0EEEJSt7dividesIdEPddEEEvT_T0_DpT1_,"axG",@progbits,_ZN2at6native12_GLOBAL__N_125multi_tensor_apply_kernelINS1_18TensorListMetadataILi1EEENS1_27BinaryOpScalarTensorFunctorIdLi1ELi1ELi0EEEJSt7dividesIdEPddEEEvT_T0_DpT1_,comdat
.Lfunc_end53:
	.size	_ZN2at6native12_GLOBAL__N_125multi_tensor_apply_kernelINS1_18TensorListMetadataILi1EEENS1_27BinaryOpScalarTensorFunctorIdLi1ELi1ELi0EEEJSt7dividesIdEPddEEEvT_T0_DpT1_, .Lfunc_end53-_ZN2at6native12_GLOBAL__N_125multi_tensor_apply_kernelINS1_18TensorListMetadataILi1EEENS1_27BinaryOpScalarTensorFunctorIdLi1ELi1ELi0EEEJSt7dividesIdEPddEEEvT_T0_DpT1_
                                        ; -- End function
	.set _ZN2at6native12_GLOBAL__N_125multi_tensor_apply_kernelINS1_18TensorListMetadataILi1EEENS1_27BinaryOpScalarTensorFunctorIdLi1ELi1ELi0EEEJSt7dividesIdEPddEEEvT_T0_DpT1_.num_vgpr, 47
	.set _ZN2at6native12_GLOBAL__N_125multi_tensor_apply_kernelINS1_18TensorListMetadataILi1EEENS1_27BinaryOpScalarTensorFunctorIdLi1ELi1ELi0EEEJSt7dividesIdEPddEEEvT_T0_DpT1_.num_agpr, 0
	.set _ZN2at6native12_GLOBAL__N_125multi_tensor_apply_kernelINS1_18TensorListMetadataILi1EEENS1_27BinaryOpScalarTensorFunctorIdLi1ELi1ELi0EEEJSt7dividesIdEPddEEEvT_T0_DpT1_.numbered_sgpr, 29
	.set _ZN2at6native12_GLOBAL__N_125multi_tensor_apply_kernelINS1_18TensorListMetadataILi1EEENS1_27BinaryOpScalarTensorFunctorIdLi1ELi1ELi0EEEJSt7dividesIdEPddEEEvT_T0_DpT1_.num_named_barrier, 0
	.set _ZN2at6native12_GLOBAL__N_125multi_tensor_apply_kernelINS1_18TensorListMetadataILi1EEENS1_27BinaryOpScalarTensorFunctorIdLi1ELi1ELi0EEEJSt7dividesIdEPddEEEvT_T0_DpT1_.private_seg_size, 0
	.set _ZN2at6native12_GLOBAL__N_125multi_tensor_apply_kernelINS1_18TensorListMetadataILi1EEENS1_27BinaryOpScalarTensorFunctorIdLi1ELi1ELi0EEEJSt7dividesIdEPddEEEvT_T0_DpT1_.uses_vcc, 1
	.set _ZN2at6native12_GLOBAL__N_125multi_tensor_apply_kernelINS1_18TensorListMetadataILi1EEENS1_27BinaryOpScalarTensorFunctorIdLi1ELi1ELi0EEEJSt7dividesIdEPddEEEvT_T0_DpT1_.uses_flat_scratch, 0
	.set _ZN2at6native12_GLOBAL__N_125multi_tensor_apply_kernelINS1_18TensorListMetadataILi1EEENS1_27BinaryOpScalarTensorFunctorIdLi1ELi1ELi0EEEJSt7dividesIdEPddEEEvT_T0_DpT1_.has_dyn_sized_stack, 0
	.set _ZN2at6native12_GLOBAL__N_125multi_tensor_apply_kernelINS1_18TensorListMetadataILi1EEENS1_27BinaryOpScalarTensorFunctorIdLi1ELi1ELi0EEEJSt7dividesIdEPddEEEvT_T0_DpT1_.has_recursion, 0
	.set _ZN2at6native12_GLOBAL__N_125multi_tensor_apply_kernelINS1_18TensorListMetadataILi1EEENS1_27BinaryOpScalarTensorFunctorIdLi1ELi1ELi0EEEJSt7dividesIdEPddEEEvT_T0_DpT1_.has_indirect_call, 0
	.section	.AMDGPU.csdata,"",@progbits
; Kernel info:
; codeLenInByte = 2100
; TotalNumSgprs: 31
; NumVgprs: 47
; ScratchSize: 0
; MemoryBound: 0
; FloatMode: 240
; IeeeMode: 1
; LDSByteSize: 0 bytes/workgroup (compile time only)
; SGPRBlocks: 0
; VGPRBlocks: 5
; NumSGPRsForWavesPerEU: 31
; NumVGPRsForWavesPerEU: 47
; Occupancy: 16
; WaveLimiterHint : 0
; COMPUTE_PGM_RSRC2:SCRATCH_EN: 0
; COMPUTE_PGM_RSRC2:USER_SGPR: 2
; COMPUTE_PGM_RSRC2:TRAP_HANDLER: 0
; COMPUTE_PGM_RSRC2:TGID_X_EN: 1
; COMPUTE_PGM_RSRC2:TGID_Y_EN: 0
; COMPUTE_PGM_RSRC2:TGID_Z_EN: 0
; COMPUTE_PGM_RSRC2:TIDIG_COMP_CNT: 0
	.section	.text._ZN2at6native12_GLOBAL__N_125multi_tensor_apply_kernelINS1_18TensorListMetadataILi1EEENS1_27BinaryOpScalarTensorFunctorIfLi1ELi1ELi0EEEJSt7dividesIfEPffEEEvT_T0_DpT1_,"axG",@progbits,_ZN2at6native12_GLOBAL__N_125multi_tensor_apply_kernelINS1_18TensorListMetadataILi1EEENS1_27BinaryOpScalarTensorFunctorIfLi1ELi1ELi0EEEJSt7dividesIfEPffEEEvT_T0_DpT1_,comdat
	.globl	_ZN2at6native12_GLOBAL__N_125multi_tensor_apply_kernelINS1_18TensorListMetadataILi1EEENS1_27BinaryOpScalarTensorFunctorIfLi1ELi1ELi0EEEJSt7dividesIfEPffEEEvT_T0_DpT1_ ; -- Begin function _ZN2at6native12_GLOBAL__N_125multi_tensor_apply_kernelINS1_18TensorListMetadataILi1EEENS1_27BinaryOpScalarTensorFunctorIfLi1ELi1ELi0EEEJSt7dividesIfEPffEEEvT_T0_DpT1_
	.p2align	8
	.type	_ZN2at6native12_GLOBAL__N_125multi_tensor_apply_kernelINS1_18TensorListMetadataILi1EEENS1_27BinaryOpScalarTensorFunctorIfLi1ELi1ELi0EEEJSt7dividesIfEPffEEEvT_T0_DpT1_,@function
_ZN2at6native12_GLOBAL__N_125multi_tensor_apply_kernelINS1_18TensorListMetadataILi1EEENS1_27BinaryOpScalarTensorFunctorIfLi1ELi1ELi0EEEJSt7dividesIfEPffEEEvT_T0_DpT1_: ; @_ZN2at6native12_GLOBAL__N_125multi_tensor_apply_kernelINS1_18TensorListMetadataILi1EEENS1_27BinaryOpScalarTensorFunctorIfLi1ELi1ELi0EEEJSt7dividesIfEPffEEEvT_T0_DpT1_
; %bb.0:
	s_mov_b32 s2, ttmp9
	s_mov_b32 s3, 0
	s_delay_alu instid0(SALU_CYCLE_1)
	s_mul_u64 s[4:5], s[2:3], 3
	s_add_nc_u64 s[6:7], s[0:1], s[2:3]
	s_mov_b32 s17, s3
	s_add_nc_u64 s[4:5], s[6:7], s[4:5]
	s_clause 0x1
	s_load_b32 s4, s[4:5], 0x820
	s_load_u8 s2, s[0:1], ttmp9 offset:0x6e0
	s_wait_kmcnt 0x0
	s_ashr_i32 s5, s4, 31
	s_lshl_b32 s2, s2, 3
	s_clause 0x2
	s_load_b64 s[6:7], s[0:1], s2 offset:0x0
	s_load_b64 s[14:15], s[0:1], s2 offset:0x370
	s_load_b96 s[8:10], s[0:1], 0xd30
	s_lshl_b64 s[12:13], s[4:5], 18
	s_lshl_b64 s[4:5], s[4:5], 16
	s_wait_kmcnt 0x0
	s_and_b32 s2, s6, 15
	s_and_b32 s16, s14, 3
	s_sub_nc_u64 s[14:15], s[14:15], s[4:5]
	s_or_b64 s[2:3], s[2:3], s[16:17]
	s_delay_alu instid0(SALU_CYCLE_1)
	s_cmp_eq_u64 s[2:3], 0
	s_cbranch_scc1 .LBB54_21
; %bb.1:
	v_cmp_lt_i64_e64 s2, s[14:15], 1
	s_and_b32 vcc_lo, exec_lo, s2
	s_cbranch_vccnz .LBB54_20
; %bb.2:
	s_load_b32 s2, s[0:1], 0xd4c
	v_cmp_gt_i64_e64 s11, 0x10000, s[14:15]
	v_lshlrev_b32_e32 v1, 2, v0
	s_add_nc_u64 s[4:5], s[6:7], s[12:13]
	s_mov_b32 s3, 0
	v_cmp_gt_u64_e64 s16, 0x10000, s[14:15]
	s_mov_b32 s17, s3
	v_add_co_u32 v1, s18, s4, v1
	s_and_b32 s11, s11, exec_lo
	v_add_co_ci_u32_e64 v2, null, s5, 0, s18
	s_cselect_b32 s19, s15, 0
	s_cselect_b32 s18, s14, 0x10000
	v_mov_b32_e32 v5, 0
	s_wait_kmcnt 0x0
	s_and_b32 s2, s2, 0xffff
	s_and_b32 s11, s16, exec_lo
	s_mul_u64 s[22:23], s[2:3], 12
	v_add_co_u32 v6, s3, v0, s2
	s_cselect_b32 s21, s15, 0
	s_cselect_b32 s20, s14, 0x10000
	s_lshl_b32 s11, s2, 1
	v_lshlrev_b32_e32 v3, 2, v6
	s_mul_i32 s24, s2, 3
	v_add_co_ci_u32_e64 v9, null, 0, 0, s3
	v_add_co_u32 v10, s3, s11, v0
	v_add_co_u32 v7, s24, s24, v0
	s_wait_alu 0xf1ff
	v_add_co_ci_u32_e64 v11, null, 0, 0, s3
	v_add_co_u32 v3, s3, s4, v3
	v_add_co_ci_u32_e64 v8, null, 0, 0, s24
	s_wait_alu 0xf1ff
	v_add_co_ci_u32_e64 v4, null, s5, 0, s3
	s_lshl_b32 s16, s2, 2
	s_lshl_b32 s11, s2, 4
	;; [unrolled: 1-line block ×3, first 2 shown]
	s_mov_b64 s[24:25], 0
	s_branch .LBB54_4
.LBB54_3:                               ;   in Loop: Header=BB54_4 Depth=1
	s_wait_alu 0xfffe
	s_or_b32 exec_lo, exec_lo, s3
	s_add_nc_u64 s[24:25], s[24:25], s[16:17]
	v_add_co_u32 v1, vcc_lo, v1, s11
	s_wait_alu 0xfffe
	v_cmp_lt_i64_e64 s2, s[24:25], s[18:19]
	s_wait_alu 0xfffd
	v_add_co_ci_u32_e64 v2, null, 0, v2, vcc_lo
	v_add_co_u32 v3, vcc_lo, v3, s11
	s_wait_alu 0xfffd
	v_add_co_ci_u32_e64 v4, null, 0, v4, vcc_lo
	s_and_b32 vcc_lo, exec_lo, s2
	s_wait_alu 0xfffe
	s_cbranch_vccz .LBB54_20
.LBB54_4:                               ; =>This Inner Loop Header: Depth=1
	s_wait_alu 0xfffe
	v_add_co_u32 v12, s2, v0, s24
	s_wait_alu 0xf1ff
	v_add_co_ci_u32_e64 v13, null, 0, s25, s2
	v_mov_b32_e32 v16, 0
	s_delay_alu instid0(VALU_DEP_2)
	v_cmp_gt_u64_e32 vcc_lo, s[20:21], v[12:13]
	s_and_saveexec_b32 s2, vcc_lo
	s_cbranch_execz .LBB54_6
; %bb.5:                                ;   in Loop: Header=BB54_4 Depth=1
	global_load_b32 v16, v[1:2], off
.LBB54_6:                               ;   in Loop: Header=BB54_4 Depth=1
	s_wait_alu 0xfffe
	s_or_b32 exec_lo, exec_lo, s2
	v_add_co_u32 v12, s2, v6, s24
	s_wait_alu 0xf1ff
	v_add_co_ci_u32_e64 v13, null, s25, v9, s2
	v_mov_b32_e32 v14, 0
	s_delay_alu instid0(VALU_DEP_2)
	v_cmp_gt_u64_e64 s4, s[20:21], v[12:13]
	v_mov_b32_e32 v12, 0
	s_and_saveexec_b32 s2, s4
	s_cbranch_execz .LBB54_8
; %bb.7:                                ;   in Loop: Header=BB54_4 Depth=1
	global_load_b32 v14, v[3:4], off
.LBB54_8:                               ;   in Loop: Header=BB54_4 Depth=1
	s_wait_alu 0xfffe
	s_or_b32 exec_lo, exec_lo, s2
	v_add_co_u32 v17, s2, v10, s24
	s_wait_alu 0xf1ff
	v_add_co_ci_u32_e64 v18, null, s25, v11, s2
	s_delay_alu instid0(VALU_DEP_1)
	v_cmp_gt_u64_e64 s3, s[20:21], v[17:18]
	s_and_saveexec_b32 s5, s3
	s_cbranch_execz .LBB54_10
; %bb.9:                                ;   in Loop: Header=BB54_4 Depth=1
	v_add_co_u32 v12, s2, v1, s26
	s_wait_alu 0xf1ff
	v_add_co_ci_u32_e64 v13, null, 0, v2, s2
	global_load_b32 v12, v[12:13], off
.LBB54_10:                              ;   in Loop: Header=BB54_4 Depth=1
	s_wait_alu 0xfffe
	s_or_b32 exec_lo, exec_lo, s5
	v_add_co_u32 v17, s2, v7, s24
	s_wait_alu 0xf1ff
	v_add_co_ci_u32_e64 v18, null, s25, v8, s2
	v_mov_b32_e32 v13, 0
	s_delay_alu instid0(VALU_DEP_2)
	v_cmp_gt_u64_e64 s2, s[20:21], v[17:18]
	s_and_saveexec_b32 s27, s2
	s_cbranch_execz .LBB54_12
; %bb.11:                               ;   in Loop: Header=BB54_4 Depth=1
	v_add_co_u32 v17, s5, v1, s22
	s_wait_alu 0xf1ff
	v_add_co_ci_u32_e64 v18, null, s23, v2, s5
	global_load_b32 v13, v[17:18], off
.LBB54_12:                              ;   in Loop: Header=BB54_4 Depth=1
	s_wait_alu 0xfffe
	s_or_b32 exec_lo, exec_lo, s27
	global_load_b32 v15, v5, s[8:9]
	s_wait_loadcnt 0x0
	v_mul_f32_e32 v15, s10, v15
	s_and_saveexec_b32 s5, vcc_lo
	s_cbranch_execnz .LBB54_16
; %bb.13:                               ;   in Loop: Header=BB54_4 Depth=1
	s_wait_alu 0xfffe
	s_or_b32 exec_lo, exec_lo, s5
	s_and_saveexec_b32 s5, s4
	s_cbranch_execnz .LBB54_17
.LBB54_14:                              ;   in Loop: Header=BB54_4 Depth=1
	s_wait_alu 0xfffe
	s_or_b32 exec_lo, exec_lo, s5
	s_and_saveexec_b32 s4, s3
	s_cbranch_execnz .LBB54_18
.LBB54_15:                              ;   in Loop: Header=BB54_4 Depth=1
	s_wait_alu 0xfffe
	s_or_b32 exec_lo, exec_lo, s4
	s_and_saveexec_b32 s3, s2
	s_cbranch_execz .LBB54_3
	s_branch .LBB54_19
.LBB54_16:                              ;   in Loop: Header=BB54_4 Depth=1
	s_delay_alu instid0(VALU_DEP_1) | instskip(NEXT) | instid1(VALU_DEP_1)
	v_div_scale_f32 v17, null, v15, v15, v16
	v_rcp_f32_e32 v18, v17
	s_delay_alu instid0(TRANS32_DEP_1) | instskip(NEXT) | instid1(VALU_DEP_1)
	v_fma_f32 v19, -v17, v18, 1.0
	v_fmac_f32_e32 v18, v19, v18
	v_div_scale_f32 v19, vcc_lo, v16, v15, v16
	s_delay_alu instid0(VALU_DEP_1) | instskip(NEXT) | instid1(VALU_DEP_1)
	v_mul_f32_e32 v20, v19, v18
	v_fma_f32 v21, -v17, v20, v19
	s_delay_alu instid0(VALU_DEP_1) | instskip(NEXT) | instid1(VALU_DEP_1)
	v_fmac_f32_e32 v20, v21, v18
	v_fma_f32 v17, -v17, v20, v19
	s_wait_alu 0xfffd
	s_delay_alu instid0(VALU_DEP_1) | instskip(NEXT) | instid1(VALU_DEP_1)
	v_div_fmas_f32 v17, v17, v18, v20
	v_div_fixup_f32 v16, v17, v15, v16
	global_store_b32 v[1:2], v16, off
	s_wait_alu 0xfffe
	s_or_b32 exec_lo, exec_lo, s5
	s_and_saveexec_b32 s5, s4
	s_cbranch_execz .LBB54_14
.LBB54_17:                              ;   in Loop: Header=BB54_4 Depth=1
	v_div_scale_f32 v16, null, v15, v15, v14
	s_delay_alu instid0(VALU_DEP_1) | instskip(NEXT) | instid1(TRANS32_DEP_1)
	v_rcp_f32_e32 v17, v16
	v_fma_f32 v18, -v16, v17, 1.0
	s_delay_alu instid0(VALU_DEP_1) | instskip(SKIP_1) | instid1(VALU_DEP_1)
	v_fmac_f32_e32 v17, v18, v17
	v_div_scale_f32 v18, vcc_lo, v14, v15, v14
	v_mul_f32_e32 v19, v18, v17
	s_delay_alu instid0(VALU_DEP_1) | instskip(NEXT) | instid1(VALU_DEP_1)
	v_fma_f32 v20, -v16, v19, v18
	v_fmac_f32_e32 v19, v20, v17
	s_delay_alu instid0(VALU_DEP_1) | instskip(SKIP_1) | instid1(VALU_DEP_1)
	v_fma_f32 v16, -v16, v19, v18
	s_wait_alu 0xfffd
	v_div_fmas_f32 v16, v16, v17, v19
	s_delay_alu instid0(VALU_DEP_1)
	v_div_fixup_f32 v14, v16, v15, v14
	global_store_b32 v[3:4], v14, off
	s_wait_alu 0xfffe
	s_or_b32 exec_lo, exec_lo, s5
	s_and_saveexec_b32 s4, s3
	s_cbranch_execz .LBB54_15
.LBB54_18:                              ;   in Loop: Header=BB54_4 Depth=1
	v_div_scale_f32 v14, null, v15, v15, v12
	v_div_scale_f32 v18, vcc_lo, v12, v15, v12
	s_delay_alu instid0(VALU_DEP_2) | instskip(NEXT) | instid1(TRANS32_DEP_1)
	v_rcp_f32_e32 v16, v14
	v_fma_f32 v17, -v14, v16, 1.0
	s_delay_alu instid0(VALU_DEP_1) | instskip(NEXT) | instid1(VALU_DEP_1)
	v_fmac_f32_e32 v16, v17, v16
	v_mul_f32_e32 v17, v18, v16
	s_delay_alu instid0(VALU_DEP_1) | instskip(NEXT) | instid1(VALU_DEP_1)
	v_fma_f32 v19, -v14, v17, v18
	v_fmac_f32_e32 v17, v19, v16
	s_delay_alu instid0(VALU_DEP_1) | instskip(SKIP_1) | instid1(VALU_DEP_1)
	v_fma_f32 v14, -v14, v17, v18
	s_wait_alu 0xfffd
	v_div_fmas_f32 v14, v14, v16, v17
	v_add_co_u32 v16, vcc_lo, v1, s26
	s_wait_alu 0xfffd
	v_add_co_ci_u32_e64 v17, null, 0, v2, vcc_lo
	s_delay_alu instid0(VALU_DEP_3)
	v_div_fixup_f32 v12, v14, v15, v12
	global_store_b32 v[16:17], v12, off
	s_wait_alu 0xfffe
	s_or_b32 exec_lo, exec_lo, s4
	s_and_saveexec_b32 s3, s2
	s_cbranch_execz .LBB54_3
.LBB54_19:                              ;   in Loop: Header=BB54_4 Depth=1
	v_div_scale_f32 v12, null, v15, v15, v13
	v_div_scale_f32 v17, vcc_lo, v13, v15, v13
	s_delay_alu instid0(VALU_DEP_2) | instskip(NEXT) | instid1(TRANS32_DEP_1)
	v_rcp_f32_e32 v14, v12
	v_fma_f32 v16, -v12, v14, 1.0
	s_delay_alu instid0(VALU_DEP_1) | instskip(NEXT) | instid1(VALU_DEP_1)
	v_fmac_f32_e32 v14, v16, v14
	v_mul_f32_e32 v16, v17, v14
	s_delay_alu instid0(VALU_DEP_1) | instskip(NEXT) | instid1(VALU_DEP_1)
	v_fma_f32 v18, -v12, v16, v17
	v_fmac_f32_e32 v16, v18, v14
	s_delay_alu instid0(VALU_DEP_1) | instskip(SKIP_1) | instid1(VALU_DEP_1)
	v_fma_f32 v12, -v12, v16, v17
	s_wait_alu 0xfffd
	v_div_fmas_f32 v12, v12, v14, v16
	s_delay_alu instid0(VALU_DEP_1)
	v_div_fixup_f32 v14, v12, v15, v13
	v_add_co_u32 v12, vcc_lo, v1, s22
	s_wait_alu 0xfffd
	v_add_co_ci_u32_e64 v13, null, s23, v2, vcc_lo
	global_store_b32 v[12:13], v14, off
	s_branch .LBB54_3
.LBB54_20:
	s_cbranch_execz .LBB54_22
	s_branch .LBB54_25
.LBB54_21:
.LBB54_22:
	v_cmp_gt_i64_e64 s2, 0x10000, s[14:15]
	v_dual_mov_b32 v2, 0 :: v_dual_lshlrev_b32 v1, 2, v0
	s_mov_b32 s11, 0
	s_and_b32 s2, s2, exec_lo
	s_cselect_b32 s5, s15, 0
	s_cselect_b32 s4, s14, 0x10000
	s_mov_b32 s2, exec_lo
	s_wait_alu 0xfffe
	v_cmpx_gt_i64_e64 s[4:5], v[1:2]
	s_cbranch_execz .LBB54_25
; %bb.23:
	s_load_b32 s2, s[0:1], 0xd4c
	v_lshlrev_b32_e32 v1, 4, v0
	s_add_nc_u64 s[0:1], s[6:7], s[12:13]
	s_delay_alu instid0(VALU_DEP_1) | instid1(SALU_CYCLE_1)
	v_add_co_u32 v3, s0, s0, v1
	s_wait_alu 0xf1ff
	v_add_co_ci_u32_e64 v4, null, s1, 0, s0
	v_mov_b32_e32 v1, v2
	s_delay_alu instid0(VALU_DEP_3) | instskip(SKIP_1) | instid1(VALU_DEP_3)
	v_add_co_u32 v3, vcc_lo, v3, 8
	s_wait_alu 0xfffd
	v_add_co_ci_u32_e64 v4, null, 0, v4, vcc_lo
	s_wait_kmcnt 0x0
	s_and_b32 s6, s2, 0xffff
	s_delay_alu instid0(SALU_CYCLE_1)
	s_lshl_b32 s7, s6, 4
.LBB54_24:                              ; =>This Inner Loop Header: Depth=1
	global_load_b32 v11, v2, s[8:9]
	global_load_b128 v[5:8], v[3:4], off offset:-8
	v_add_co_u32 v0, vcc_lo, v0, s6
	s_wait_alu 0xfffd
	v_add_co_ci_u32_e64 v1, null, 0, v1, vcc_lo
	s_delay_alu instid0(VALU_DEP_1) | instskip(NEXT) | instid1(VALU_DEP_1)
	v_lshlrev_b64_e32 v[9:10], 2, v[0:1]
	v_cmp_le_i64_e64 s0, s[4:5], v[9:10]
	s_or_b32 s11, s0, s11
	s_wait_loadcnt 0x1
	v_mul_f32_e32 v9, s10, v11
	s_wait_loadcnt 0x0
	s_delay_alu instid0(VALU_DEP_1) | instskip(NEXT) | instid1(VALU_DEP_1)
	v_div_scale_f32 v10, null, v9, v9, v5
	v_rcp_f32_e32 v18, v10
	s_delay_alu instid0(TRANS32_DEP_1) | instskip(NEXT) | instid1(VALU_DEP_1)
	v_fma_f32 v22, -v10, v18, 1.0
	v_fmac_f32_e32 v18, v22, v18
	v_div_scale_f32 v12, null, v9, v9, v6
	v_div_scale_f32 v14, null, v9, v9, v7
	;; [unrolled: 1-line block ×3, first 2 shown]
	s_delay_alu instid0(VALU_DEP_3) | instskip(NEXT) | instid1(VALU_DEP_2)
	v_rcp_f32_e32 v19, v12
	v_rcp_f32_e32 v20, v14
	v_div_scale_f32 v11, vcc_lo, v5, v9, v5
	s_delay_alu instid0(VALU_DEP_2) | instskip(SKIP_3) | instid1(TRANS32_DEP_3)
	v_rcp_f32_e32 v21, v16
	v_div_scale_f32 v13, s1, v6, v9, v6
	v_div_scale_f32 v15, s2, v7, v9, v7
	;; [unrolled: 1-line block ×3, first 2 shown]
	v_fma_f32 v23, -v12, v19, 1.0
	s_delay_alu instid0(TRANS32_DEP_2) | instskip(SKIP_1) | instid1(TRANS32_DEP_1)
	v_fma_f32 v24, -v14, v20, 1.0
	v_mul_f32_e32 v22, v11, v18
	v_fma_f32 v25, -v16, v21, 1.0
	s_delay_alu instid0(VALU_DEP_3) | instskip(NEXT) | instid1(VALU_DEP_3)
	v_dual_fmac_f32 v19, v23, v19 :: v_dual_fmac_f32 v20, v24, v20
	v_fma_f32 v26, -v10, v22, v11
	s_delay_alu instid0(VALU_DEP_3) | instskip(NEXT) | instid1(VALU_DEP_3)
	v_fmac_f32_e32 v21, v25, v21
	v_dual_mul_f32 v23, v13, v19 :: v_dual_mul_f32 v24, v15, v20
	s_delay_alu instid0(VALU_DEP_2) | instskip(NEXT) | instid1(VALU_DEP_2)
	v_dual_fmac_f32 v22, v26, v18 :: v_dual_mul_f32 v25, v17, v21
	v_fma_f32 v27, -v12, v23, v13
	s_delay_alu instid0(VALU_DEP_3) | instskip(NEXT) | instid1(VALU_DEP_3)
	v_fma_f32 v28, -v14, v24, v15
	v_fma_f32 v10, -v10, v22, v11
	s_delay_alu instid0(VALU_DEP_4) | instskip(NEXT) | instid1(VALU_DEP_3)
	v_fma_f32 v29, -v16, v25, v17
	v_dual_fmac_f32 v23, v27, v19 :: v_dual_fmac_f32 v24, v28, v20
	s_wait_alu 0xfffd
	s_delay_alu instid0(VALU_DEP_3) | instskip(NEXT) | instid1(VALU_DEP_3)
	v_div_fmas_f32 v10, v10, v18, v22
	v_fmac_f32_e32 v25, v29, v21
	s_mov_b32 vcc_lo, s1
	v_fma_f32 v11, -v12, v23, v13
	v_fma_f32 v12, -v14, v24, v15
	v_div_fixup_f32 v5, v10, v9, v5
	v_fma_f32 v13, -v16, v25, v17
	s_wait_alu 0xfffe
	v_div_fmas_f32 v11, v11, v19, v23
	s_mov_b32 vcc_lo, s2
	s_wait_alu 0xfffe
	v_div_fmas_f32 v12, v12, v20, v24
	s_mov_b32 vcc_lo, s3
	v_div_fixup_f32 v6, v11, v9, v6
	s_wait_alu 0xfffe
	v_div_fmas_f32 v10, v13, v21, v25
	v_div_fixup_f32 v7, v12, v9, v7
	s_delay_alu instid0(VALU_DEP_2)
	v_div_fixup_f32 v8, v10, v9, v8
	global_store_b128 v[3:4], v[5:8], off offset:-8
	v_add_co_u32 v3, vcc_lo, v3, s7
	s_wait_alu 0xfffd
	v_add_co_ci_u32_e64 v4, null, 0, v4, vcc_lo
	s_and_not1_b32 exec_lo, exec_lo, s11
	s_cbranch_execnz .LBB54_24
.LBB54_25:
	s_endpgm
	.section	.rodata,"a",@progbits
	.p2align	6, 0x0
	.amdhsa_kernel _ZN2at6native12_GLOBAL__N_125multi_tensor_apply_kernelINS1_18TensorListMetadataILi1EEENS1_27BinaryOpScalarTensorFunctorIfLi1ELi1ELi0EEEJSt7dividesIfEPffEEEvT_T0_DpT1_
		.amdhsa_group_segment_fixed_size 0
		.amdhsa_private_segment_fixed_size 0
		.amdhsa_kernarg_size 3648
		.amdhsa_user_sgpr_count 2
		.amdhsa_user_sgpr_dispatch_ptr 0
		.amdhsa_user_sgpr_queue_ptr 0
		.amdhsa_user_sgpr_kernarg_segment_ptr 1
		.amdhsa_user_sgpr_dispatch_id 0
		.amdhsa_user_sgpr_private_segment_size 0
		.amdhsa_wavefront_size32 1
		.amdhsa_uses_dynamic_stack 0
		.amdhsa_enable_private_segment 0
		.amdhsa_system_sgpr_workgroup_id_x 1
		.amdhsa_system_sgpr_workgroup_id_y 0
		.amdhsa_system_sgpr_workgroup_id_z 0
		.amdhsa_system_sgpr_workgroup_info 0
		.amdhsa_system_vgpr_workitem_id 0
		.amdhsa_next_free_vgpr 30
		.amdhsa_next_free_sgpr 28
		.amdhsa_reserve_vcc 1
		.amdhsa_float_round_mode_32 0
		.amdhsa_float_round_mode_16_64 0
		.amdhsa_float_denorm_mode_32 3
		.amdhsa_float_denorm_mode_16_64 3
		.amdhsa_fp16_overflow 0
		.amdhsa_workgroup_processor_mode 1
		.amdhsa_memory_ordered 1
		.amdhsa_forward_progress 1
		.amdhsa_inst_pref_size 16
		.amdhsa_round_robin_scheduling 0
		.amdhsa_exception_fp_ieee_invalid_op 0
		.amdhsa_exception_fp_denorm_src 0
		.amdhsa_exception_fp_ieee_div_zero 0
		.amdhsa_exception_fp_ieee_overflow 0
		.amdhsa_exception_fp_ieee_underflow 0
		.amdhsa_exception_fp_ieee_inexact 0
		.amdhsa_exception_int_div_zero 0
	.end_amdhsa_kernel
	.section	.text._ZN2at6native12_GLOBAL__N_125multi_tensor_apply_kernelINS1_18TensorListMetadataILi1EEENS1_27BinaryOpScalarTensorFunctorIfLi1ELi1ELi0EEEJSt7dividesIfEPffEEEvT_T0_DpT1_,"axG",@progbits,_ZN2at6native12_GLOBAL__N_125multi_tensor_apply_kernelINS1_18TensorListMetadataILi1EEENS1_27BinaryOpScalarTensorFunctorIfLi1ELi1ELi0EEEJSt7dividesIfEPffEEEvT_T0_DpT1_,comdat
.Lfunc_end54:
	.size	_ZN2at6native12_GLOBAL__N_125multi_tensor_apply_kernelINS1_18TensorListMetadataILi1EEENS1_27BinaryOpScalarTensorFunctorIfLi1ELi1ELi0EEEJSt7dividesIfEPffEEEvT_T0_DpT1_, .Lfunc_end54-_ZN2at6native12_GLOBAL__N_125multi_tensor_apply_kernelINS1_18TensorListMetadataILi1EEENS1_27BinaryOpScalarTensorFunctorIfLi1ELi1ELi0EEEJSt7dividesIfEPffEEEvT_T0_DpT1_
                                        ; -- End function
	.set _ZN2at6native12_GLOBAL__N_125multi_tensor_apply_kernelINS1_18TensorListMetadataILi1EEENS1_27BinaryOpScalarTensorFunctorIfLi1ELi1ELi0EEEJSt7dividesIfEPffEEEvT_T0_DpT1_.num_vgpr, 30
	.set _ZN2at6native12_GLOBAL__N_125multi_tensor_apply_kernelINS1_18TensorListMetadataILi1EEENS1_27BinaryOpScalarTensorFunctorIfLi1ELi1ELi0EEEJSt7dividesIfEPffEEEvT_T0_DpT1_.num_agpr, 0
	.set _ZN2at6native12_GLOBAL__N_125multi_tensor_apply_kernelINS1_18TensorListMetadataILi1EEENS1_27BinaryOpScalarTensorFunctorIfLi1ELi1ELi0EEEJSt7dividesIfEPffEEEvT_T0_DpT1_.numbered_sgpr, 28
	.set _ZN2at6native12_GLOBAL__N_125multi_tensor_apply_kernelINS1_18TensorListMetadataILi1EEENS1_27BinaryOpScalarTensorFunctorIfLi1ELi1ELi0EEEJSt7dividesIfEPffEEEvT_T0_DpT1_.num_named_barrier, 0
	.set _ZN2at6native12_GLOBAL__N_125multi_tensor_apply_kernelINS1_18TensorListMetadataILi1EEENS1_27BinaryOpScalarTensorFunctorIfLi1ELi1ELi0EEEJSt7dividesIfEPffEEEvT_T0_DpT1_.private_seg_size, 0
	.set _ZN2at6native12_GLOBAL__N_125multi_tensor_apply_kernelINS1_18TensorListMetadataILi1EEENS1_27BinaryOpScalarTensorFunctorIfLi1ELi1ELi0EEEJSt7dividesIfEPffEEEvT_T0_DpT1_.uses_vcc, 1
	.set _ZN2at6native12_GLOBAL__N_125multi_tensor_apply_kernelINS1_18TensorListMetadataILi1EEENS1_27BinaryOpScalarTensorFunctorIfLi1ELi1ELi0EEEJSt7dividesIfEPffEEEvT_T0_DpT1_.uses_flat_scratch, 0
	.set _ZN2at6native12_GLOBAL__N_125multi_tensor_apply_kernelINS1_18TensorListMetadataILi1EEENS1_27BinaryOpScalarTensorFunctorIfLi1ELi1ELi0EEEJSt7dividesIfEPffEEEvT_T0_DpT1_.has_dyn_sized_stack, 0
	.set _ZN2at6native12_GLOBAL__N_125multi_tensor_apply_kernelINS1_18TensorListMetadataILi1EEENS1_27BinaryOpScalarTensorFunctorIfLi1ELi1ELi0EEEJSt7dividesIfEPffEEEvT_T0_DpT1_.has_recursion, 0
	.set _ZN2at6native12_GLOBAL__N_125multi_tensor_apply_kernelINS1_18TensorListMetadataILi1EEENS1_27BinaryOpScalarTensorFunctorIfLi1ELi1ELi0EEEJSt7dividesIfEPffEEEvT_T0_DpT1_.has_indirect_call, 0
	.section	.AMDGPU.csdata,"",@progbits
; Kernel info:
; codeLenInByte = 1980
; TotalNumSgprs: 30
; NumVgprs: 30
; ScratchSize: 0
; MemoryBound: 0
; FloatMode: 240
; IeeeMode: 1
; LDSByteSize: 0 bytes/workgroup (compile time only)
; SGPRBlocks: 0
; VGPRBlocks: 3
; NumSGPRsForWavesPerEU: 30
; NumVGPRsForWavesPerEU: 30
; Occupancy: 16
; WaveLimiterHint : 0
; COMPUTE_PGM_RSRC2:SCRATCH_EN: 0
; COMPUTE_PGM_RSRC2:USER_SGPR: 2
; COMPUTE_PGM_RSRC2:TRAP_HANDLER: 0
; COMPUTE_PGM_RSRC2:TGID_X_EN: 1
; COMPUTE_PGM_RSRC2:TGID_Y_EN: 0
; COMPUTE_PGM_RSRC2:TGID_Z_EN: 0
; COMPUTE_PGM_RSRC2:TIDIG_COMP_CNT: 0
	.section	.text._ZN2at6native12_GLOBAL__N_125multi_tensor_apply_kernelINS1_18TensorListMetadataILi1EEENS1_27BinaryOpScalarTensorFunctorIN3c107complexIdEELi1ELi1ELi0EEEJSt7dividesIS8_EPS8_S8_EEEvT_T0_DpT1_,"axG",@progbits,_ZN2at6native12_GLOBAL__N_125multi_tensor_apply_kernelINS1_18TensorListMetadataILi1EEENS1_27BinaryOpScalarTensorFunctorIN3c107complexIdEELi1ELi1ELi0EEEJSt7dividesIS8_EPS8_S8_EEEvT_T0_DpT1_,comdat
	.globl	_ZN2at6native12_GLOBAL__N_125multi_tensor_apply_kernelINS1_18TensorListMetadataILi1EEENS1_27BinaryOpScalarTensorFunctorIN3c107complexIdEELi1ELi1ELi0EEEJSt7dividesIS8_EPS8_S8_EEEvT_T0_DpT1_ ; -- Begin function _ZN2at6native12_GLOBAL__N_125multi_tensor_apply_kernelINS1_18TensorListMetadataILi1EEENS1_27BinaryOpScalarTensorFunctorIN3c107complexIdEELi1ELi1ELi0EEEJSt7dividesIS8_EPS8_S8_EEEvT_T0_DpT1_
	.p2align	8
	.type	_ZN2at6native12_GLOBAL__N_125multi_tensor_apply_kernelINS1_18TensorListMetadataILi1EEENS1_27BinaryOpScalarTensorFunctorIN3c107complexIdEELi1ELi1ELi0EEEJSt7dividesIS8_EPS8_S8_EEEvT_T0_DpT1_,@function
_ZN2at6native12_GLOBAL__N_125multi_tensor_apply_kernelINS1_18TensorListMetadataILi1EEENS1_27BinaryOpScalarTensorFunctorIN3c107complexIdEELi1ELi1ELi0EEEJSt7dividesIS8_EPS8_S8_EEEvT_T0_DpT1_: ; @_ZN2at6native12_GLOBAL__N_125multi_tensor_apply_kernelINS1_18TensorListMetadataILi1EEENS1_27BinaryOpScalarTensorFunctorIN3c107complexIdEELi1ELi1ELi0EEEJSt7dividesIS8_EPS8_S8_EEEvT_T0_DpT1_
; %bb.0:
	s_load_u8 s8, s[0:1], ttmp9 offset:0x6e0
	s_mov_b32 s2, ttmp9
	s_mov_b32 s3, 0
	s_delay_alu instid0(SALU_CYCLE_1)
	s_mul_u64 s[4:5], s[2:3], 3
	s_add_nc_u64 s[6:7], s[0:1], s[2:3]
	s_mov_b32 s9, s3
	s_add_nc_u64 s[4:5], s[6:7], s[4:5]
	s_load_b32 s4, s[4:5], 0x820
	s_wait_kmcnt 0x0
	s_lshl_b32 s2, s8, 3
	s_clause 0x3
	s_load_b64 s[16:17], s[0:1], s2 offset:0x0
	s_load_b64 s[6:7], s[0:1], s2 offset:0x370
	s_load_b64 s[10:11], s[0:1], 0xd30
	s_load_b128 s[12:15], s[0:1], 0xd40
	s_ashr_i32 s5, s4, 31
	s_delay_alu instid0(SALU_CYCLE_1)
	s_lshl_b64 s[18:19], s[4:5], 20
	s_lshl_b64 s[4:5], s[4:5], 16
	s_wait_kmcnt 0x0
	s_add_nc_u64 s[22:23], s[16:17], s[18:19]
	s_and_b32 s8, s6, 3
	s_and_b32 s2, s22, 63
	s_sub_nc_u64 s[20:21], s[6:7], s[4:5]
	s_or_b64 s[2:3], s[2:3], s[8:9]
	s_delay_alu instid0(SALU_CYCLE_1)
	s_cmp_eq_u64 s[2:3], 0
	s_cbranch_scc1 .LBB55_53
; %bb.1:
	v_cmp_lt_i64_e64 s2, s[20:21], 1
	s_and_b32 vcc_lo, exec_lo, s2
	s_cbranch_vccnz .LBB55_52
; %bb.2:
	s_load_b32 s2, s[0:1], 0xd5c
	v_cmp_gt_i64_e64 s3, 0x10000, s[20:21]
	v_cmp_gt_u64_e64 s4, 0x10000, s[20:21]
	v_dual_mov_b32 v22, 0 :: v_dual_lshlrev_b32 v21, 4, v0
	s_mov_b32 s25, 0
	s_mov_b64 s[34:35], 0
	s_and_b32 s3, s3, exec_lo
	s_cselect_b32 s27, s21, 0
	s_cselect_b32 s26, s20, 0x10000
	s_mov_b32 s31, s25
	s_wait_kmcnt 0x0
	s_and_b32 s2, s2, 0xffff
	s_and_b32 s3, s4, exec_lo
	s_mul_i32 s4, s2, 3
	v_add_co_u32 v39, s5, v0, s2
	v_mad_co_u64_u32 v[23:24], null, s2, 48, v[21:22]
	s_cselect_b32 s29, s21, 0
	s_cselect_b32 s28, s20, 0x10000
	v_add_co_ci_u32_e64 v40, null, 0, 0, s5
	s_lshl_b32 s5, s2, 5
	v_add_co_u32 v41, s4, s4, v0
	s_wait_alu 0xf1ff
	v_add_co_ci_u32_e64 v42, null, 0, 0, s4
	s_wait_alu 0xfffe
	v_add_co_u32 v1, s4, s5, v21
	s_lshl_b32 s3, s2, 1
	v_lshlrev_b32_e32 v43, 4, v39
	s_wait_alu 0xfffe
	v_add_co_u32 v46, s3, s3, v0
	v_or_b32_e32 v23, 8, v23
	v_add_co_ci_u32_e64 v44, null, 0, 0, s4
	v_or_b32_e32 v45, 8, v1
	s_wait_alu 0xf1ff
	v_add_co_ci_u32_e64 v47, null, 0, 0, s3
	s_lshl_b32 s24, s2, 2
	s_lshl_b32 s30, s2, 6
	s_branch .LBB55_4
.LBB55_3:                               ;   in Loop: Header=BB55_4 Depth=1
	s_wait_alu 0xfffe
	s_or_b32 exec_lo, exec_lo, s2
	s_add_nc_u64 s[34:35], s[34:35], s[24:25]
	s_add_nc_u64 s[22:23], s[22:23], s[30:31]
	s_wait_alu 0xfffe
	v_cmp_ge_i64_e64 s2, s[34:35], s[26:27]
	s_and_b32 vcc_lo, exec_lo, s2
	s_wait_alu 0xfffe
	s_cbranch_vccnz .LBB55_52
.LBB55_4:                               ; =>This Inner Loop Header: Depth=1
	v_add_co_u32 v1, s2, v0, s34
	s_wait_alu 0xf1ff
	v_add_co_ci_u32_e64 v2, null, 0, s35, s2
	v_mov_b32_e32 v11, 0
	v_dual_mov_b32 v12, 0 :: v_dual_mov_b32 v19, 0
	s_delay_alu instid0(VALU_DEP_3)
	v_cmp_gt_u64_e64 s2, s[28:29], v[1:2]
	v_dual_mov_b32 v17, 0 :: v_dual_mov_b32 v20, 0
	v_mov_b32_e32 v18, 0
	s_and_saveexec_b32 s3, s2
	s_cbranch_execz .LBB55_6
; %bb.5:                                ;   in Loop: Header=BB55_4 Depth=1
	v_add_co_u32 v1, s4, s22, v21
	s_wait_alu 0xf1ff
	v_add_co_ci_u32_e64 v2, null, s23, 0, s4
	global_load_b128 v[17:20], v[1:2], off
.LBB55_6:                               ;   in Loop: Header=BB55_4 Depth=1
	s_wait_alu 0xfffe
	s_or_b32 exec_lo, exec_lo, s3
	v_add_co_u32 v1, vcc_lo, v39, s34
	s_wait_alu 0xfffd
	v_add_co_ci_u32_e64 v2, null, s35, v40, vcc_lo
	v_mov_b32_e32 v9, 0
	v_mov_b32_e32 v10, 0
	s_delay_alu instid0(VALU_DEP_3)
	v_cmp_gt_u64_e64 s3, s[28:29], v[1:2]
	s_and_saveexec_b32 s4, s3
	s_cbranch_execz .LBB55_8
; %bb.7:                                ;   in Loop: Header=BB55_4 Depth=1
	v_add_co_u32 v1, s5, s22, v43
	s_wait_alu 0xf1ff
	v_add_co_ci_u32_e64 v2, null, s23, 0, s5
	global_load_b128 v[9:12], v[1:2], off
.LBB55_8:                               ;   in Loop: Header=BB55_4 Depth=1
	s_wait_alu 0xfffe
	s_or_b32 exec_lo, exec_lo, s4
	v_add_co_u32 v1, vcc_lo, v46, s34
	s_wait_alu 0xfffd
	v_add_co_ci_u32_e64 v2, null, s35, v47, vcc_lo
	v_mov_b32_e32 v3, 0
	v_dual_mov_b32 v4, 0 :: v_dual_mov_b32 v7, 0
	s_delay_alu instid0(VALU_DEP_3)
	v_cmp_gt_u64_e64 s4, s[28:29], v[1:2]
	v_dual_mov_b32 v5, 0 :: v_dual_mov_b32 v8, 0
	v_mov_b32_e32 v6, 0
	s_and_saveexec_b32 s5, s4
	s_cbranch_execz .LBB55_10
; %bb.9:                                ;   in Loop: Header=BB55_4 Depth=1
	v_add_co_u32 v1, vcc_lo, s22, v45
	s_wait_alu 0xfffd
	v_add_co_ci_u32_e64 v2, null, s23, v44, vcc_lo
	global_load_b128 v[5:8], v[1:2], off offset:-8
.LBB55_10:                              ;   in Loop: Header=BB55_4 Depth=1
	s_wait_alu 0xfffe
	s_or_b32 exec_lo, exec_lo, s5
	v_add_co_u32 v1, vcc_lo, v41, s34
	s_wait_alu 0xfffd
	v_add_co_ci_u32_e64 v2, null, s35, v42, vcc_lo
	s_delay_alu instid0(VALU_DEP_1)
	v_cmp_gt_u64_e64 s5, s[28:29], v[1:2]
	v_mov_b32_e32 v1, 0
	v_mov_b32_e32 v2, 0
	s_and_saveexec_b32 s6, s5
	s_cbranch_execz .LBB55_12
; %bb.11:                               ;   in Loop: Header=BB55_4 Depth=1
	v_add_co_u32 v1, vcc_lo, s22, v23
	s_wait_alu 0xfffd
	v_add_co_ci_u32_e64 v2, null, s23, v24, vcc_lo
	global_load_b128 v[1:4], v[1:2], off offset:-8
.LBB55_12:                              ;   in Loop: Header=BB55_4 Depth=1
	s_wait_alu 0xfffe
	s_or_b32 exec_lo, exec_lo, s6
	global_load_b128 v[13:16], v22, s[10:11]
	s_wait_loadcnt 0x0
	v_mul_f64_e32 v[25:26], s[14:15], v[15:16]
	v_mul_f64_e32 v[15:16], s[12:13], v[15:16]
	s_delay_alu instid0(VALU_DEP_2) | instskip(NEXT) | instid1(VALU_DEP_2)
	v_fma_f64 v[33:34], s[12:13], v[13:14], -v[25:26]
	v_fma_f64 v[13:14], s[14:15], v[13:14], v[15:16]
	s_delay_alu instid0(VALU_DEP_2) | instskip(NEXT) | instid1(VALU_DEP_2)
	v_cmp_neq_f64_e64 s7, 0, v[33:34]
	v_div_scale_f64 v[15:16], null, v[33:34], v[33:34], v[13:14]
	v_div_scale_f64 v[29:30], vcc_lo, v[13:14], v[33:34], v[13:14]
	v_cmp_neq_f64_e64 s8, 0, v[13:14]
	s_delay_alu instid0(VALU_DEP_3) | instskip(SKIP_2) | instid1(TRANS32_DEP_1)
	v_rcp_f64_e32 v[25:26], v[15:16]
	s_or_b32 s8, s7, s8
	s_mov_b32 s7, -1
	v_fma_f64 v[27:28], -v[15:16], v[25:26], 1.0
	s_delay_alu instid0(VALU_DEP_1) | instskip(NEXT) | instid1(VALU_DEP_1)
	v_fma_f64 v[25:26], v[25:26], v[27:28], v[25:26]
	v_fma_f64 v[27:28], -v[15:16], v[25:26], 1.0
	s_delay_alu instid0(VALU_DEP_1) | instskip(NEXT) | instid1(VALU_DEP_1)
	v_fma_f64 v[25:26], v[25:26], v[27:28], v[25:26]
	v_mul_f64_e32 v[27:28], v[29:30], v[25:26]
	s_delay_alu instid0(VALU_DEP_1) | instskip(SKIP_1) | instid1(VALU_DEP_1)
	v_fma_f64 v[15:16], -v[15:16], v[27:28], v[29:30]
	s_wait_alu 0xfffd
	v_div_fmas_f64 v[15:16], v[15:16], v[25:26], v[27:28]
	v_div_scale_f64 v[27:28], null, v[13:14], v[13:14], v[33:34]
	s_delay_alu instid0(VALU_DEP_2) | instskip(NEXT) | instid1(VALU_DEP_2)
	v_div_fixup_f64 v[31:32], v[15:16], v[33:34], v[13:14]
	v_rcp_f64_e32 v[35:36], v[27:28]
	s_delay_alu instid0(VALU_DEP_1) | instskip(NEXT) | instid1(TRANS32_DEP_1)
	v_fma_f64 v[15:16], v[13:14], v[31:32], v[33:34]
	v_fma_f64 v[48:49], -v[27:28], v[35:36], 1.0
	s_delay_alu instid0(VALU_DEP_2) | instskip(SKIP_1) | instid1(VALU_DEP_3)
	v_div_scale_f64 v[25:26], null, v[15:16], v[15:16], 1.0
	v_div_scale_f64 v[50:51], vcc_lo, 1.0, v[15:16], 1.0
	v_fma_f64 v[35:36], v[35:36], v[48:49], v[35:36]
	s_delay_alu instid0(VALU_DEP_3) | instskip(NEXT) | instid1(VALU_DEP_1)
	v_rcp_f64_e32 v[29:30], v[25:26]
	v_fma_f64 v[48:49], -v[27:28], v[35:36], 1.0
	s_delay_alu instid0(TRANS32_DEP_1) | instskip(NEXT) | instid1(VALU_DEP_2)
	v_fma_f64 v[37:38], -v[25:26], v[29:30], 1.0
	v_fma_f64 v[35:36], v[35:36], v[48:49], v[35:36]
	s_delay_alu instid0(VALU_DEP_2) | instskip(NEXT) | instid1(VALU_DEP_1)
	v_fma_f64 v[29:30], v[29:30], v[37:38], v[29:30]
	v_fma_f64 v[37:38], -v[25:26], v[29:30], 1.0
	s_delay_alu instid0(VALU_DEP_1) | instskip(SKIP_1) | instid1(VALU_DEP_2)
	v_fma_f64 v[29:30], v[29:30], v[37:38], v[29:30]
	v_div_scale_f64 v[37:38], s6, v[33:34], v[13:14], v[33:34]
	v_mul_f64_e32 v[48:49], v[50:51], v[29:30]
	s_delay_alu instid0(VALU_DEP_2) | instskip(NEXT) | instid1(VALU_DEP_2)
	v_mul_f64_e32 v[52:53], v[37:38], v[35:36]
	v_fma_f64 v[25:26], -v[25:26], v[48:49], v[50:51]
	s_delay_alu instid0(VALU_DEP_2) | instskip(SKIP_1) | instid1(VALU_DEP_2)
	v_fma_f64 v[27:28], -v[27:28], v[52:53], v[37:38]
	s_wait_alu 0xfffd
	v_div_fmas_f64 v[37:38], v[25:26], v[29:30], v[48:49]
	s_mov_b32 vcc_lo, s6
	v_cmp_gt_f64_e64 s6, 0, v[33:34]
	s_wait_alu 0xfffe
	s_delay_alu instid0(VALU_DEP_3) | instskip(NEXT) | instid1(VALU_DEP_1)
	v_div_fmas_f64 v[25:26], v[27:28], v[35:36], v[52:53]
	v_div_fixup_f64 v[25:26], v[25:26], v[13:14], v[33:34]
	s_delay_alu instid0(VALU_DEP_1) | instskip(NEXT) | instid1(VALU_DEP_1)
	v_fma_f64 v[35:36], v[33:34], v[25:26], v[13:14]
	v_div_scale_f64 v[27:28], null, v[35:36], v[35:36], 1.0
	s_delay_alu instid0(VALU_DEP_1) | instskip(NEXT) | instid1(TRANS32_DEP_1)
	v_rcp_f64_e32 v[29:30], v[27:28]
	v_fma_f64 v[48:49], -v[27:28], v[29:30], 1.0
	s_delay_alu instid0(VALU_DEP_1) | instskip(NEXT) | instid1(VALU_DEP_1)
	v_fma_f64 v[29:30], v[29:30], v[48:49], v[29:30]
	v_fma_f64 v[48:49], -v[27:28], v[29:30], 1.0
	s_delay_alu instid0(VALU_DEP_1) | instskip(SKIP_1) | instid1(VALU_DEP_1)
	v_fma_f64 v[48:49], v[29:30], v[48:49], v[29:30]
	v_div_scale_f64 v[29:30], vcc_lo, 1.0, v[35:36], 1.0
	v_mul_f64_e32 v[50:51], v[29:30], v[48:49]
	s_delay_alu instid0(VALU_DEP_1) | instskip(SKIP_3) | instid1(VALU_DEP_2)
	v_fma_f64 v[52:53], -v[27:28], v[50:51], v[29:30]
	v_xor_b32_e32 v27, 0x80000000, v34
	v_xor_b32_e32 v29, 0x80000000, v14
	s_wait_alu 0xf1ff
	v_cndmask_b32_e64 v28, v34, v27, s6
	v_cmp_gt_f64_e64 s6, 0, v[13:14]
	v_mov_b32_e32 v27, v33
	v_div_fixup_f64 v[33:34], v[37:38], v[15:16], 1.0
	s_wait_alu 0xfffd
	v_div_fmas_f64 v[37:38], v[52:53], v[48:49], v[50:51]
	s_wait_alu 0xf1ff
	s_delay_alu instid0(VALU_DEP_4) | instskip(SKIP_1) | instid1(VALU_DEP_1)
	v_cndmask_b32_e64 v30, v14, v29, s6
	v_mov_b32_e32 v29, v13
                                        ; implicit-def: $vgpr15_vgpr16
	v_cmp_ge_f64_e64 s6, v[27:28], v[29:30]
	s_and_b32 vcc_lo, exec_lo, s6
	s_wait_alu 0xfffe
	s_cbranch_vccz .LBB55_18
; %bb.13:                               ;   in Loop: Header=BB55_4 Depth=1
	s_and_b32 vcc_lo, exec_lo, s8
                                        ; implicit-def: $vgpr15_vgpr16
	s_wait_alu 0xfffe
	s_cbranch_vccz .LBB55_15
; %bb.14:                               ;   in Loop: Header=BB55_4 Depth=1
	v_fma_f64 v[13:14], v[19:20], v[31:32], v[17:18]
	v_fma_f64 v[15:16], -v[17:18], v[31:32], v[19:20]
	s_mov_b32 s7, 0
	s_delay_alu instid0(VALU_DEP_2) | instskip(NEXT) | instid1(VALU_DEP_2)
	v_mul_f64_e32 v[13:14], v[13:14], v[33:34]
	v_mul_f64_e32 v[15:16], v[15:16], v[33:34]
.LBB55_15:                              ;   in Loop: Header=BB55_4 Depth=1
	s_wait_alu 0xfffe
	s_and_not1_b32 vcc_lo, exec_lo, s7
	s_wait_alu 0xfffe
	s_cbranch_vccnz .LBB55_17
; %bb.16:                               ;   in Loop: Header=BB55_4 Depth=1
	v_div_scale_f64 v[13:14], null, v[27:28], v[27:28], v[17:18]
	v_div_scale_f64 v[15:16], null, v[29:30], v[29:30], v[19:20]
	v_div_scale_f64 v[56:57], vcc_lo, v[17:18], v[27:28], v[17:18]
	s_delay_alu instid0(VALU_DEP_3) | instskip(NEXT) | instid1(VALU_DEP_2)
	v_rcp_f64_e32 v[48:49], v[13:14]
	v_rcp_f64_e32 v[50:51], v[15:16]
	s_delay_alu instid0(TRANS32_DEP_2) | instskip(NEXT) | instid1(TRANS32_DEP_1)
	v_fma_f64 v[52:53], -v[13:14], v[48:49], 1.0
	v_fma_f64 v[54:55], -v[15:16], v[50:51], 1.0
	s_delay_alu instid0(VALU_DEP_2) | instskip(NEXT) | instid1(VALU_DEP_2)
	v_fma_f64 v[48:49], v[48:49], v[52:53], v[48:49]
	v_fma_f64 v[50:51], v[50:51], v[54:55], v[50:51]
	s_delay_alu instid0(VALU_DEP_2) | instskip(NEXT) | instid1(VALU_DEP_2)
	v_fma_f64 v[52:53], -v[13:14], v[48:49], 1.0
	v_fma_f64 v[54:55], -v[15:16], v[50:51], 1.0
	s_delay_alu instid0(VALU_DEP_2) | instskip(SKIP_1) | instid1(VALU_DEP_3)
	v_fma_f64 v[48:49], v[48:49], v[52:53], v[48:49]
	v_div_scale_f64 v[52:53], s7, v[19:20], v[29:30], v[19:20]
	v_fma_f64 v[50:51], v[50:51], v[54:55], v[50:51]
	s_delay_alu instid0(VALU_DEP_3) | instskip(NEXT) | instid1(VALU_DEP_2)
	v_mul_f64_e32 v[54:55], v[56:57], v[48:49]
	v_mul_f64_e32 v[58:59], v[52:53], v[50:51]
	s_delay_alu instid0(VALU_DEP_2) | instskip(NEXT) | instid1(VALU_DEP_2)
	v_fma_f64 v[13:14], -v[13:14], v[54:55], v[56:57]
	v_fma_f64 v[15:16], -v[15:16], v[58:59], v[52:53]
	s_wait_alu 0xfffd
	s_delay_alu instid0(VALU_DEP_2) | instskip(SKIP_2) | instid1(VALU_DEP_2)
	v_div_fmas_f64 v[13:14], v[13:14], v[48:49], v[54:55]
	s_mov_b32 vcc_lo, s7
	s_wait_alu 0xfffe
	v_div_fmas_f64 v[15:16], v[15:16], v[50:51], v[58:59]
	s_delay_alu instid0(VALU_DEP_2) | instskip(NEXT) | instid1(VALU_DEP_2)
	v_div_fixup_f64 v[13:14], v[13:14], v[27:28], v[17:18]
	v_div_fixup_f64 v[15:16], v[15:16], v[29:30], v[19:20]
.LBB55_17:                              ;   in Loop: Header=BB55_4 Depth=1
	s_mov_b32 s7, 0
.LBB55_18:                              ;   in Loop: Header=BB55_4 Depth=1
	v_div_fixup_f64 v[35:36], v[37:38], v[35:36], 1.0
	s_wait_alu 0xfffe
	s_and_not1_b32 vcc_lo, exec_lo, s7
	s_wait_alu 0xfffe
	s_cbranch_vccnz .LBB55_20
; %bb.19:                               ;   in Loop: Header=BB55_4 Depth=1
	v_fma_f64 v[13:14], v[17:18], v[25:26], v[19:20]
	v_fma_f64 v[15:16], v[19:20], v[25:26], -v[17:18]
	s_delay_alu instid0(VALU_DEP_2) | instskip(NEXT) | instid1(VALU_DEP_2)
	v_mul_f64_e32 v[13:14], v[13:14], v[35:36]
	v_mul_f64_e32 v[15:16], v[15:16], v[35:36]
.LBB55_20:                              ;   in Loop: Header=BB55_4 Depth=1
	v_cndmask_b32_e64 v37, 0, 1, s8
	v_cndmask_b32_e64 v38, 0, 1, s6
	s_and_not1_b32 vcc_lo, exec_lo, s6
	s_mov_b32 s6, -1
                                        ; implicit-def: $vgpr19_vgpr20
	s_delay_alu instid0(VALU_DEP_2)
	v_cmp_ne_u32_e64 s7, 1, v37
	s_wait_alu 0xfffe
	s_cbranch_vccnz .LBB55_26
; %bb.21:                               ;   in Loop: Header=BB55_4 Depth=1
	s_and_b32 vcc_lo, exec_lo, s7
                                        ; implicit-def: $vgpr19_vgpr20
	s_wait_alu 0xfffe
	s_cbranch_vccnz .LBB55_23
; %bb.22:                               ;   in Loop: Header=BB55_4 Depth=1
	v_fma_f64 v[17:18], v[11:12], v[31:32], v[9:10]
	v_fma_f64 v[19:20], -v[9:10], v[31:32], v[11:12]
	s_mov_b32 s6, 0
	s_delay_alu instid0(VALU_DEP_2) | instskip(NEXT) | instid1(VALU_DEP_2)
	v_mul_f64_e32 v[17:18], v[17:18], v[33:34]
	v_mul_f64_e32 v[19:20], v[19:20], v[33:34]
.LBB55_23:                              ;   in Loop: Header=BB55_4 Depth=1
	s_wait_alu 0xfffe
	s_and_not1_b32 vcc_lo, exec_lo, s6
	s_wait_alu 0xfffe
	s_cbranch_vccnz .LBB55_25
; %bb.24:                               ;   in Loop: Header=BB55_4 Depth=1
	v_div_scale_f64 v[17:18], null, v[27:28], v[27:28], v[9:10]
	v_div_scale_f64 v[19:20], null, v[29:30], v[29:30], v[11:12]
	v_div_scale_f64 v[56:57], vcc_lo, v[9:10], v[27:28], v[9:10]
	s_delay_alu instid0(VALU_DEP_3) | instskip(NEXT) | instid1(VALU_DEP_2)
	v_rcp_f64_e32 v[48:49], v[17:18]
	v_rcp_f64_e32 v[50:51], v[19:20]
	s_delay_alu instid0(TRANS32_DEP_2) | instskip(NEXT) | instid1(TRANS32_DEP_1)
	v_fma_f64 v[52:53], -v[17:18], v[48:49], 1.0
	v_fma_f64 v[54:55], -v[19:20], v[50:51], 1.0
	s_delay_alu instid0(VALU_DEP_2) | instskip(NEXT) | instid1(VALU_DEP_2)
	v_fma_f64 v[48:49], v[48:49], v[52:53], v[48:49]
	v_fma_f64 v[50:51], v[50:51], v[54:55], v[50:51]
	s_delay_alu instid0(VALU_DEP_2) | instskip(NEXT) | instid1(VALU_DEP_2)
	v_fma_f64 v[52:53], -v[17:18], v[48:49], 1.0
	v_fma_f64 v[54:55], -v[19:20], v[50:51], 1.0
	s_delay_alu instid0(VALU_DEP_2) | instskip(SKIP_1) | instid1(VALU_DEP_3)
	v_fma_f64 v[48:49], v[48:49], v[52:53], v[48:49]
	v_div_scale_f64 v[52:53], s6, v[11:12], v[29:30], v[11:12]
	v_fma_f64 v[50:51], v[50:51], v[54:55], v[50:51]
	s_delay_alu instid0(VALU_DEP_3) | instskip(NEXT) | instid1(VALU_DEP_2)
	v_mul_f64_e32 v[54:55], v[56:57], v[48:49]
	v_mul_f64_e32 v[58:59], v[52:53], v[50:51]
	s_delay_alu instid0(VALU_DEP_2) | instskip(NEXT) | instid1(VALU_DEP_2)
	v_fma_f64 v[17:18], -v[17:18], v[54:55], v[56:57]
	v_fma_f64 v[19:20], -v[19:20], v[58:59], v[52:53]
	s_wait_alu 0xfffd
	s_delay_alu instid0(VALU_DEP_2) | instskip(SKIP_2) | instid1(VALU_DEP_2)
	v_div_fmas_f64 v[17:18], v[17:18], v[48:49], v[54:55]
	s_mov_b32 vcc_lo, s6
	s_wait_alu 0xfffe
	v_div_fmas_f64 v[19:20], v[19:20], v[50:51], v[58:59]
	s_delay_alu instid0(VALU_DEP_2) | instskip(NEXT) | instid1(VALU_DEP_2)
	v_div_fixup_f64 v[17:18], v[17:18], v[27:28], v[9:10]
	v_div_fixup_f64 v[19:20], v[19:20], v[29:30], v[11:12]
.LBB55_25:                              ;   in Loop: Header=BB55_4 Depth=1
	s_cbranch_execnz .LBB55_28
	s_branch .LBB55_27
.LBB55_26:                              ;   in Loop: Header=BB55_4 Depth=1
	s_and_not1_b32 vcc_lo, exec_lo, s6
	s_wait_alu 0xfffe
	s_cbranch_vccnz .LBB55_28
.LBB55_27:                              ;   in Loop: Header=BB55_4 Depth=1
	v_fma_f64 v[17:18], v[9:10], v[25:26], v[11:12]
	v_fma_f64 v[9:10], v[11:12], v[25:26], -v[9:10]
	s_delay_alu instid0(VALU_DEP_2) | instskip(NEXT) | instid1(VALU_DEP_2)
	v_mul_f64_e32 v[17:18], v[17:18], v[35:36]
	v_mul_f64_e32 v[19:20], v[9:10], v[35:36]
.LBB55_28:                              ;   in Loop: Header=BB55_4 Depth=1
	v_cmp_ne_u32_e32 vcc_lo, 1, v38
	s_mov_b32 s6, -1
                                        ; implicit-def: $vgpr11_vgpr12
	s_cbranch_vccnz .LBB55_34
; %bb.29:                               ;   in Loop: Header=BB55_4 Depth=1
	s_and_not1_b32 vcc_lo, exec_lo, s8
                                        ; implicit-def: $vgpr11_vgpr12
	s_wait_alu 0xfffe
	s_cbranch_vccnz .LBB55_31
; %bb.30:                               ;   in Loop: Header=BB55_4 Depth=1
	v_fma_f64 v[9:10], v[7:8], v[31:32], v[5:6]
	v_fma_f64 v[11:12], -v[5:6], v[31:32], v[7:8]
	s_mov_b32 s6, 0
	s_delay_alu instid0(VALU_DEP_2) | instskip(NEXT) | instid1(VALU_DEP_2)
	v_mul_f64_e32 v[9:10], v[9:10], v[33:34]
	v_mul_f64_e32 v[11:12], v[11:12], v[33:34]
.LBB55_31:                              ;   in Loop: Header=BB55_4 Depth=1
	s_wait_alu 0xfffe
	s_and_not1_b32 vcc_lo, exec_lo, s6
	s_wait_alu 0xfffe
	s_cbranch_vccnz .LBB55_33
; %bb.32:                               ;   in Loop: Header=BB55_4 Depth=1
	v_div_scale_f64 v[9:10], null, v[27:28], v[27:28], v[5:6]
	v_div_scale_f64 v[11:12], null, v[29:30], v[29:30], v[7:8]
	v_div_scale_f64 v[56:57], vcc_lo, v[5:6], v[27:28], v[5:6]
	s_delay_alu instid0(VALU_DEP_3) | instskip(NEXT) | instid1(VALU_DEP_2)
	v_rcp_f64_e32 v[48:49], v[9:10]
	v_rcp_f64_e32 v[50:51], v[11:12]
	s_delay_alu instid0(TRANS32_DEP_2) | instskip(NEXT) | instid1(TRANS32_DEP_1)
	v_fma_f64 v[52:53], -v[9:10], v[48:49], 1.0
	v_fma_f64 v[54:55], -v[11:12], v[50:51], 1.0
	s_delay_alu instid0(VALU_DEP_2) | instskip(NEXT) | instid1(VALU_DEP_2)
	v_fma_f64 v[48:49], v[48:49], v[52:53], v[48:49]
	v_fma_f64 v[50:51], v[50:51], v[54:55], v[50:51]
	s_delay_alu instid0(VALU_DEP_2) | instskip(NEXT) | instid1(VALU_DEP_2)
	v_fma_f64 v[52:53], -v[9:10], v[48:49], 1.0
	v_fma_f64 v[54:55], -v[11:12], v[50:51], 1.0
	s_delay_alu instid0(VALU_DEP_2) | instskip(SKIP_1) | instid1(VALU_DEP_3)
	v_fma_f64 v[48:49], v[48:49], v[52:53], v[48:49]
	v_div_scale_f64 v[52:53], s6, v[7:8], v[29:30], v[7:8]
	v_fma_f64 v[50:51], v[50:51], v[54:55], v[50:51]
	s_delay_alu instid0(VALU_DEP_3) | instskip(NEXT) | instid1(VALU_DEP_2)
	v_mul_f64_e32 v[54:55], v[56:57], v[48:49]
	v_mul_f64_e32 v[58:59], v[52:53], v[50:51]
	s_delay_alu instid0(VALU_DEP_2) | instskip(NEXT) | instid1(VALU_DEP_2)
	v_fma_f64 v[9:10], -v[9:10], v[54:55], v[56:57]
	v_fma_f64 v[11:12], -v[11:12], v[58:59], v[52:53]
	s_wait_alu 0xfffd
	s_delay_alu instid0(VALU_DEP_2) | instskip(SKIP_2) | instid1(VALU_DEP_2)
	v_div_fmas_f64 v[9:10], v[9:10], v[48:49], v[54:55]
	s_mov_b32 vcc_lo, s6
	s_wait_alu 0xfffe
	v_div_fmas_f64 v[11:12], v[11:12], v[50:51], v[58:59]
	s_delay_alu instid0(VALU_DEP_2) | instskip(NEXT) | instid1(VALU_DEP_2)
	v_div_fixup_f64 v[9:10], v[9:10], v[27:28], v[5:6]
	v_div_fixup_f64 v[11:12], v[11:12], v[29:30], v[7:8]
.LBB55_33:                              ;   in Loop: Header=BB55_4 Depth=1
	s_cbranch_execnz .LBB55_36
	s_branch .LBB55_35
.LBB55_34:                              ;   in Loop: Header=BB55_4 Depth=1
	s_wait_alu 0xfffe
	s_and_not1_b32 vcc_lo, exec_lo, s6
	s_wait_alu 0xfffe
	s_cbranch_vccnz .LBB55_36
.LBB55_35:                              ;   in Loop: Header=BB55_4 Depth=1
	v_fma_f64 v[9:10], v[5:6], v[25:26], v[7:8]
	v_fma_f64 v[5:6], v[7:8], v[25:26], -v[5:6]
	s_delay_alu instid0(VALU_DEP_2) | instskip(NEXT) | instid1(VALU_DEP_2)
	v_mul_f64_e32 v[9:10], v[9:10], v[35:36]
	v_mul_f64_e32 v[11:12], v[5:6], v[35:36]
.LBB55_36:                              ;   in Loop: Header=BB55_4 Depth=1
	v_cmp_ne_u32_e32 vcc_lo, 1, v38
	s_mov_b32 s6, -1
                                        ; implicit-def: $vgpr7_vgpr8
	s_cbranch_vccnz .LBB55_46
; %bb.37:                               ;   in Loop: Header=BB55_4 Depth=1
	v_cmp_ne_u32_e32 vcc_lo, 1, v37
                                        ; implicit-def: $vgpr7_vgpr8
	s_cbranch_vccnz .LBB55_39
; %bb.38:                               ;   in Loop: Header=BB55_4 Depth=1
	v_fma_f64 v[5:6], v[3:4], v[31:32], v[1:2]
	v_fma_f64 v[7:8], -v[1:2], v[31:32], v[3:4]
	s_mov_b32 s6, 0
	s_delay_alu instid0(VALU_DEP_2) | instskip(NEXT) | instid1(VALU_DEP_2)
	v_mul_f64_e32 v[5:6], v[5:6], v[33:34]
	v_mul_f64_e32 v[7:8], v[7:8], v[33:34]
.LBB55_39:                              ;   in Loop: Header=BB55_4 Depth=1
	s_wait_alu 0xfffe
	s_and_not1_b32 vcc_lo, exec_lo, s6
	s_wait_alu 0xfffe
	s_cbranch_vccnz .LBB55_41
; %bb.40:                               ;   in Loop: Header=BB55_4 Depth=1
	v_div_scale_f64 v[5:6], null, v[27:28], v[27:28], v[1:2]
	v_div_scale_f64 v[7:8], null, v[29:30], v[29:30], v[3:4]
	v_div_scale_f64 v[50:51], vcc_lo, v[1:2], v[27:28], v[1:2]
	s_delay_alu instid0(VALU_DEP_3) | instskip(NEXT) | instid1(VALU_DEP_2)
	v_rcp_f64_e32 v[31:32], v[5:6]
	v_rcp_f64_e32 v[33:34], v[7:8]
	s_delay_alu instid0(TRANS32_DEP_2) | instskip(NEXT) | instid1(TRANS32_DEP_1)
	v_fma_f64 v[37:38], -v[5:6], v[31:32], 1.0
	v_fma_f64 v[48:49], -v[7:8], v[33:34], 1.0
	s_delay_alu instid0(VALU_DEP_2) | instskip(NEXT) | instid1(VALU_DEP_2)
	v_fma_f64 v[31:32], v[31:32], v[37:38], v[31:32]
	v_fma_f64 v[33:34], v[33:34], v[48:49], v[33:34]
	s_delay_alu instid0(VALU_DEP_2) | instskip(NEXT) | instid1(VALU_DEP_2)
	v_fma_f64 v[37:38], -v[5:6], v[31:32], 1.0
	v_fma_f64 v[48:49], -v[7:8], v[33:34], 1.0
	s_delay_alu instid0(VALU_DEP_2) | instskip(SKIP_1) | instid1(VALU_DEP_3)
	v_fma_f64 v[31:32], v[31:32], v[37:38], v[31:32]
	v_div_scale_f64 v[37:38], s6, v[3:4], v[29:30], v[3:4]
	v_fma_f64 v[33:34], v[33:34], v[48:49], v[33:34]
	s_delay_alu instid0(VALU_DEP_3) | instskip(NEXT) | instid1(VALU_DEP_2)
	v_mul_f64_e32 v[48:49], v[50:51], v[31:32]
	v_mul_f64_e32 v[52:53], v[37:38], v[33:34]
	s_delay_alu instid0(VALU_DEP_2) | instskip(NEXT) | instid1(VALU_DEP_2)
	v_fma_f64 v[5:6], -v[5:6], v[48:49], v[50:51]
	v_fma_f64 v[7:8], -v[7:8], v[52:53], v[37:38]
	s_wait_alu 0xfffd
	s_delay_alu instid0(VALU_DEP_2) | instskip(SKIP_2) | instid1(VALU_DEP_2)
	v_div_fmas_f64 v[5:6], v[5:6], v[31:32], v[48:49]
	s_mov_b32 vcc_lo, s6
	s_wait_alu 0xfffe
	v_div_fmas_f64 v[7:8], v[7:8], v[33:34], v[52:53]
	s_delay_alu instid0(VALU_DEP_2) | instskip(NEXT) | instid1(VALU_DEP_2)
	v_div_fixup_f64 v[5:6], v[5:6], v[27:28], v[1:2]
	v_div_fixup_f64 v[7:8], v[7:8], v[29:30], v[3:4]
.LBB55_41:                              ;   in Loop: Header=BB55_4 Depth=1
	s_cbranch_execz .LBB55_47
.LBB55_42:                              ;   in Loop: Header=BB55_4 Depth=1
	s_and_saveexec_b32 s6, s2
	s_wait_alu 0xfffe
	s_xor_b32 s2, exec_lo, s6
	s_cbranch_execz .LBB55_48
.LBB55_43:                              ;   in Loop: Header=BB55_4 Depth=1
	v_add_co_u32 v1, s6, s22, v21
	s_wait_alu 0xf1ff
	v_add_co_ci_u32_e64 v2, null, s23, 0, s6
	global_store_b128 v[1:2], v[13:16], off
	s_wait_alu 0xfffe
	s_or_b32 exec_lo, exec_lo, s2
	s_and_saveexec_b32 s2, s3
	s_cbranch_execnz .LBB55_49
.LBB55_44:                              ;   in Loop: Header=BB55_4 Depth=1
	s_wait_alu 0xfffe
	s_or_b32 exec_lo, exec_lo, s2
	s_and_saveexec_b32 s2, s4
	s_cbranch_execz .LBB55_50
.LBB55_45:                              ;   in Loop: Header=BB55_4 Depth=1
	v_add_co_u32 v1, vcc_lo, s22, v45
	s_wait_alu 0xfffd
	v_add_co_ci_u32_e64 v2, null, s23, v44, vcc_lo
	global_store_b128 v[1:2], v[9:12], off offset:-8
	s_wait_alu 0xfffe
	s_or_b32 exec_lo, exec_lo, s2
	s_and_saveexec_b32 s2, s5
	s_cbranch_execz .LBB55_3
	s_branch .LBB55_51
.LBB55_46:                              ;   in Loop: Header=BB55_4 Depth=1
	s_wait_alu 0xfffe
	s_and_not1_b32 vcc_lo, exec_lo, s6
	s_wait_alu 0xfffe
	s_cbranch_vccnz .LBB55_42
.LBB55_47:                              ;   in Loop: Header=BB55_4 Depth=1
	v_fma_f64 v[5:6], v[1:2], v[25:26], v[3:4]
	v_fma_f64 v[1:2], v[3:4], v[25:26], -v[1:2]
	s_delay_alu instid0(VALU_DEP_2) | instskip(NEXT) | instid1(VALU_DEP_2)
	v_mul_f64_e32 v[5:6], v[5:6], v[35:36]
	v_mul_f64_e32 v[7:8], v[1:2], v[35:36]
	s_and_saveexec_b32 s6, s2
	s_wait_alu 0xfffe
	s_xor_b32 s2, exec_lo, s6
	s_cbranch_execnz .LBB55_43
.LBB55_48:                              ;   in Loop: Header=BB55_4 Depth=1
	s_wait_alu 0xfffe
	s_or_b32 exec_lo, exec_lo, s2
	s_and_saveexec_b32 s2, s3
	s_cbranch_execz .LBB55_44
.LBB55_49:                              ;   in Loop: Header=BB55_4 Depth=1
	v_add_co_u32 v1, s3, s22, v43
	s_wait_alu 0xf1ff
	v_add_co_ci_u32_e64 v2, null, s23, 0, s3
	global_store_b128 v[1:2], v[17:20], off
	s_wait_alu 0xfffe
	s_or_b32 exec_lo, exec_lo, s2
	s_and_saveexec_b32 s2, s4
	s_cbranch_execnz .LBB55_45
.LBB55_50:                              ;   in Loop: Header=BB55_4 Depth=1
	s_wait_alu 0xfffe
	s_or_b32 exec_lo, exec_lo, s2
	s_and_saveexec_b32 s2, s5
	s_cbranch_execz .LBB55_3
.LBB55_51:                              ;   in Loop: Header=BB55_4 Depth=1
	v_add_co_u32 v1, vcc_lo, s22, v23
	s_wait_alu 0xfffd
	v_add_co_ci_u32_e64 v2, null, s23, v24, vcc_lo
	global_store_b128 v[1:2], v[5:8], off offset:-8
	s_branch .LBB55_3
.LBB55_52:
	s_cbranch_execz .LBB55_54
	s_branch .LBB55_89
.LBB55_53:
.LBB55_54:
	v_cmp_gt_i64_e64 s2, 0x10000, s[20:21]
	v_dual_mov_b32 v22, 0 :: v_dual_lshlrev_b32 v21, 2, v0
	s_mov_b32 s6, 0
	s_and_b32 s2, s2, exec_lo
	s_cselect_b32 s5, s21, 0
	s_cselect_b32 s4, s20, 0x10000
	s_mov_b32 s2, exec_lo
	s_wait_alu 0xfffe
	v_cmpx_gt_i64_e64 s[4:5], v[21:22]
	s_cbranch_execz .LBB55_89
; %bb.55:
	s_load_b32 s2, s[0:1], 0xd5c
	v_dual_mov_b32 v1, v22 :: v_dual_lshlrev_b32 v2, 6, v0
	s_add_nc_u64 s[0:1], s[16:17], s[18:19]
	s_delay_alu instid0(VALU_DEP_1) | instid1(SALU_CYCLE_1)
	v_add_co_u32 v23, s0, s0, v2
	s_wait_alu 0xf1ff
	v_add_co_ci_u32_e64 v24, null, s1, 0, s0
	s_wait_kmcnt 0x0
	s_and_b32 s7, s2, 0xffff
	s_wait_alu 0xfffe
	s_lshl_b32 s8, s7, 6
	s_branch .LBB55_57
.LBB55_56:                              ;   in Loop: Header=BB55_57 Depth=1
	v_add_co_u32 v0, vcc_lo, v0, s7
	s_wait_alu 0xfffd
	v_add_co_ci_u32_e64 v1, null, 0, v1, vcc_lo
	global_store_b128 v[23:24], v[6:9], off
	s_wait_loadcnt 0x0
	s_clause 0x2
	global_store_b128 v[23:24], v[14:17], off offset:16
	global_store_b128 v[23:24], v[18:21], off offset:32
	;; [unrolled: 1-line block ×3, first 2 shown]
	v_add_co_u32 v23, s0, v23, s8
	v_lshlrev_b64_e32 v[2:3], 2, v[0:1]
	s_wait_alu 0xf1ff
	v_add_co_ci_u32_e64 v24, null, 0, v24, s0
	s_delay_alu instid0(VALU_DEP_2)
	v_cmp_le_i64_e32 vcc_lo, s[4:5], v[2:3]
	s_or_b32 s6, vcc_lo, s6
	s_wait_alu 0xfffe
	s_and_not1_b32 exec_lo, exec_lo, s6
	s_cbranch_execz .LBB55_89
.LBB55_57:                              ; =>This Inner Loop Header: Depth=1
	global_load_b128 v[2:5], v22, s[10:11]
	s_wait_loadcnt 0x0
	v_mul_f64_e32 v[6:7], s[14:15], v[4:5]
	v_mul_f64_e32 v[4:5], s[12:13], v[4:5]
	s_delay_alu instid0(VALU_DEP_2) | instskip(NEXT) | instid1(VALU_DEP_2)
	v_fma_f64 v[6:7], s[12:13], v[2:3], -v[6:7]
	v_fma_f64 v[8:9], s[14:15], v[2:3], v[4:5]
	s_delay_alu instid0(VALU_DEP_2) | instskip(NEXT) | instid1(VALU_DEP_2)
	v_cmp_neq_f64_e64 s1, 0, v[6:7]
	v_div_scale_f64 v[2:3], null, v[6:7], v[6:7], v[8:9]
	v_div_scale_f64 v[12:13], vcc_lo, v[8:9], v[6:7], v[8:9]
	v_cmp_neq_f64_e64 s2, 0, v[8:9]
	s_delay_alu instid0(VALU_DEP_3) | instskip(SKIP_2) | instid1(TRANS32_DEP_1)
	v_rcp_f64_e32 v[4:5], v[2:3]
	s_or_b32 s2, s1, s2
	s_mov_b32 s1, -1
	v_fma_f64 v[10:11], -v[2:3], v[4:5], 1.0
	s_delay_alu instid0(VALU_DEP_1) | instskip(NEXT) | instid1(VALU_DEP_1)
	v_fma_f64 v[4:5], v[4:5], v[10:11], v[4:5]
	v_fma_f64 v[10:11], -v[2:3], v[4:5], 1.0
	s_delay_alu instid0(VALU_DEP_1) | instskip(NEXT) | instid1(VALU_DEP_1)
	v_fma_f64 v[4:5], v[4:5], v[10:11], v[4:5]
	v_mul_f64_e32 v[10:11], v[12:13], v[4:5]
	s_delay_alu instid0(VALU_DEP_1) | instskip(SKIP_1) | instid1(VALU_DEP_1)
	v_fma_f64 v[2:3], -v[2:3], v[10:11], v[12:13]
	s_wait_alu 0xfffd
	v_div_fmas_f64 v[2:3], v[2:3], v[4:5], v[10:11]
	v_div_scale_f64 v[4:5], null, v[8:9], v[8:9], v[6:7]
	s_delay_alu instid0(VALU_DEP_2) | instskip(NEXT) | instid1(VALU_DEP_2)
	v_div_fixup_f64 v[27:28], v[2:3], v[6:7], v[8:9]
	v_rcp_f64_e32 v[12:13], v[4:5]
	s_delay_alu instid0(VALU_DEP_1) | instskip(NEXT) | instid1(TRANS32_DEP_1)
	v_fma_f64 v[33:34], v[8:9], v[27:28], v[6:7]
	v_fma_f64 v[16:17], -v[4:5], v[12:13], 1.0
	s_delay_alu instid0(VALU_DEP_2) | instskip(SKIP_1) | instid1(VALU_DEP_3)
	v_div_scale_f64 v[2:3], null, v[33:34], v[33:34], 1.0
	v_div_scale_f64 v[18:19], vcc_lo, 1.0, v[33:34], 1.0
	v_fma_f64 v[12:13], v[12:13], v[16:17], v[12:13]
	s_delay_alu instid0(VALU_DEP_3) | instskip(NEXT) | instid1(VALU_DEP_1)
	v_rcp_f64_e32 v[10:11], v[2:3]
	v_fma_f64 v[16:17], -v[4:5], v[12:13], 1.0
	s_delay_alu instid0(TRANS32_DEP_1) | instskip(NEXT) | instid1(VALU_DEP_2)
	v_fma_f64 v[14:15], -v[2:3], v[10:11], 1.0
	v_fma_f64 v[12:13], v[12:13], v[16:17], v[12:13]
	s_delay_alu instid0(VALU_DEP_2) | instskip(NEXT) | instid1(VALU_DEP_1)
	v_fma_f64 v[10:11], v[10:11], v[14:15], v[10:11]
	v_fma_f64 v[14:15], -v[2:3], v[10:11], 1.0
	s_delay_alu instid0(VALU_DEP_1) | instskip(SKIP_1) | instid1(VALU_DEP_2)
	v_fma_f64 v[10:11], v[10:11], v[14:15], v[10:11]
	v_div_scale_f64 v[14:15], s0, v[6:7], v[8:9], v[6:7]
	v_mul_f64_e32 v[16:17], v[18:19], v[10:11]
	s_delay_alu instid0(VALU_DEP_2) | instskip(NEXT) | instid1(VALU_DEP_2)
	v_mul_f64_e32 v[20:21], v[14:15], v[12:13]
	v_fma_f64 v[2:3], -v[2:3], v[16:17], v[18:19]
	s_delay_alu instid0(VALU_DEP_2) | instskip(SKIP_1) | instid1(VALU_DEP_2)
	v_fma_f64 v[4:5], -v[4:5], v[20:21], v[14:15]
	s_wait_alu 0xfffd
	v_div_fmas_f64 v[37:38], v[2:3], v[10:11], v[16:17]
	s_mov_b32 vcc_lo, s0
	v_cmp_gt_f64_e64 s0, 0, v[6:7]
	s_wait_alu 0xfffe
	s_delay_alu instid0(VALU_DEP_3) | instskip(NEXT) | instid1(VALU_DEP_3)
	v_div_fmas_f64 v[2:3], v[4:5], v[12:13], v[20:21]
	v_div_fixup_f64 v[33:34], v[37:38], v[33:34], 1.0
	s_delay_alu instid0(VALU_DEP_2)
	v_div_fixup_f64 v[25:26], v[2:3], v[8:9], v[6:7]
	s_clause 0x3
	global_load_b128 v[2:5], v[23:24], off offset:48
	global_load_b128 v[10:13], v[23:24], off offset:32
	;; [unrolled: 1-line block ×3, first 2 shown]
	global_load_b128 v[14:17], v[23:24], off
	v_fma_f64 v[35:36], v[6:7], v[25:26], v[8:9]
	s_delay_alu instid0(VALU_DEP_1) | instskip(NEXT) | instid1(VALU_DEP_1)
	v_div_scale_f64 v[29:30], null, v[35:36], v[35:36], 1.0
	v_rcp_f64_e32 v[31:32], v[29:30]
	s_delay_alu instid0(TRANS32_DEP_1) | instskip(NEXT) | instid1(VALU_DEP_1)
	v_fma_f64 v[39:40], -v[29:30], v[31:32], 1.0
	v_fma_f64 v[31:32], v[31:32], v[39:40], v[31:32]
	s_delay_alu instid0(VALU_DEP_1) | instskip(NEXT) | instid1(VALU_DEP_1)
	v_fma_f64 v[39:40], -v[29:30], v[31:32], 1.0
	v_fma_f64 v[39:40], v[31:32], v[39:40], v[31:32]
	v_div_scale_f64 v[31:32], vcc_lo, 1.0, v[35:36], 1.0
	s_delay_alu instid0(VALU_DEP_1) | instskip(NEXT) | instid1(VALU_DEP_1)
	v_mul_f64_e32 v[41:42], v[31:32], v[39:40]
	v_fma_f64 v[43:44], -v[29:30], v[41:42], v[31:32]
	v_xor_b32_e32 v29, 0x80000000, v7
	v_xor_b32_e32 v31, 0x80000000, v9
	s_wait_alu 0xf1ff
	s_delay_alu instid0(VALU_DEP_2)
	v_cndmask_b32_e64 v30, v7, v29, s0
	v_cmp_gt_f64_e64 s0, 0, v[8:9]
	v_mov_b32_e32 v29, v6
	s_wait_alu 0xfffd
	v_div_fmas_f64 v[37:38], v[43:44], v[39:40], v[41:42]
	s_wait_alu 0xf1ff
	s_delay_alu instid0(VALU_DEP_3) | instskip(SKIP_1) | instid1(VALU_DEP_1)
	v_cndmask_b32_e64 v32, v9, v31, s0
	v_mov_b32_e32 v31, v8
                                        ; implicit-def: $vgpr8_vgpr9
	v_cmp_nge_f64_e64 s3, v[29:30], v[31:32]
	v_cmp_ge_f64_e64 s0, v[29:30], v[31:32]
	s_and_b32 vcc_lo, exec_lo, s3
	s_wait_alu 0xfffe
	s_cbranch_vccnz .LBB55_63
; %bb.58:                               ;   in Loop: Header=BB55_57 Depth=1
	s_and_b32 vcc_lo, exec_lo, s2
                                        ; implicit-def: $vgpr8_vgpr9
	s_wait_alu 0xfffe
	s_cbranch_vccz .LBB55_60
; %bb.59:                               ;   in Loop: Header=BB55_57 Depth=1
	s_wait_loadcnt 0x0
	v_fma_f64 v[6:7], v[16:17], v[27:28], v[14:15]
	v_fma_f64 v[8:9], -v[14:15], v[27:28], v[16:17]
	s_mov_b32 s1, 0
	s_delay_alu instid0(VALU_DEP_2) | instskip(NEXT) | instid1(VALU_DEP_2)
	v_mul_f64_e32 v[6:7], v[6:7], v[33:34]
	v_mul_f64_e32 v[8:9], v[8:9], v[33:34]
.LBB55_60:                              ;   in Loop: Header=BB55_57 Depth=1
	s_wait_alu 0xfffe
	s_and_not1_b32 vcc_lo, exec_lo, s1
	s_wait_alu 0xfffe
	s_cbranch_vccnz .LBB55_62
; %bb.61:                               ;   in Loop: Header=BB55_57 Depth=1
	s_wait_loadcnt 0x0
	v_div_scale_f64 v[6:7], null, v[29:30], v[29:30], v[14:15]
	v_div_scale_f64 v[8:9], null, v[31:32], v[31:32], v[16:17]
	v_div_scale_f64 v[47:48], vcc_lo, v[14:15], v[29:30], v[14:15]
	s_delay_alu instid0(VALU_DEP_3) | instskip(NEXT) | instid1(VALU_DEP_2)
	v_rcp_f64_e32 v[39:40], v[6:7]
	v_rcp_f64_e32 v[41:42], v[8:9]
	s_delay_alu instid0(TRANS32_DEP_2) | instskip(NEXT) | instid1(TRANS32_DEP_1)
	v_fma_f64 v[43:44], -v[6:7], v[39:40], 1.0
	v_fma_f64 v[45:46], -v[8:9], v[41:42], 1.0
	s_delay_alu instid0(VALU_DEP_2) | instskip(NEXT) | instid1(VALU_DEP_2)
	v_fma_f64 v[39:40], v[39:40], v[43:44], v[39:40]
	v_fma_f64 v[41:42], v[41:42], v[45:46], v[41:42]
	s_delay_alu instid0(VALU_DEP_2) | instskip(NEXT) | instid1(VALU_DEP_2)
	v_fma_f64 v[43:44], -v[6:7], v[39:40], 1.0
	v_fma_f64 v[45:46], -v[8:9], v[41:42], 1.0
	s_delay_alu instid0(VALU_DEP_2) | instskip(SKIP_1) | instid1(VALU_DEP_3)
	v_fma_f64 v[39:40], v[39:40], v[43:44], v[39:40]
	v_div_scale_f64 v[43:44], s1, v[16:17], v[31:32], v[16:17]
	v_fma_f64 v[41:42], v[41:42], v[45:46], v[41:42]
	s_delay_alu instid0(VALU_DEP_3) | instskip(NEXT) | instid1(VALU_DEP_2)
	v_mul_f64_e32 v[45:46], v[47:48], v[39:40]
	v_mul_f64_e32 v[49:50], v[43:44], v[41:42]
	s_delay_alu instid0(VALU_DEP_2) | instskip(NEXT) | instid1(VALU_DEP_2)
	v_fma_f64 v[6:7], -v[6:7], v[45:46], v[47:48]
	v_fma_f64 v[8:9], -v[8:9], v[49:50], v[43:44]
	s_wait_alu 0xfffd
	s_delay_alu instid0(VALU_DEP_2) | instskip(SKIP_2) | instid1(VALU_DEP_2)
	v_div_fmas_f64 v[6:7], v[6:7], v[39:40], v[45:46]
	s_mov_b32 vcc_lo, s1
	s_wait_alu 0xfffe
	v_div_fmas_f64 v[8:9], v[8:9], v[41:42], v[49:50]
	s_delay_alu instid0(VALU_DEP_2) | instskip(NEXT) | instid1(VALU_DEP_2)
	v_div_fixup_f64 v[6:7], v[6:7], v[29:30], v[14:15]
	v_div_fixup_f64 v[8:9], v[8:9], v[31:32], v[16:17]
.LBB55_62:                              ;   in Loop: Header=BB55_57 Depth=1
	v_div_fixup_f64 v[35:36], v[37:38], v[35:36], 1.0
	s_cbranch_execnz .LBB55_65
	s_branch .LBB55_64
.LBB55_63:                              ;   in Loop: Header=BB55_57 Depth=1
	v_div_fixup_f64 v[35:36], v[37:38], v[35:36], 1.0
	s_and_not1_b32 vcc_lo, exec_lo, s1
	s_wait_alu 0xfffe
	s_cbranch_vccnz .LBB55_65
.LBB55_64:                              ;   in Loop: Header=BB55_57 Depth=1
	s_wait_loadcnt 0x0
	v_fma_f64 v[6:7], v[14:15], v[25:26], v[16:17]
	v_fma_f64 v[8:9], v[16:17], v[25:26], -v[14:15]
	s_delay_alu instid0(VALU_DEP_2) | instskip(NEXT) | instid1(VALU_DEP_2)
	v_mul_f64_e32 v[6:7], v[6:7], v[35:36]
	v_mul_f64_e32 v[8:9], v[8:9], v[35:36]
.LBB55_65:                              ;   in Loop: Header=BB55_57 Depth=1
	v_cndmask_b32_e64 v37, 0, 1, s0
	s_and_not1_b32 vcc_lo, exec_lo, s0
	s_mov_b32 s0, -1
                                        ; implicit-def: $vgpr16_vgpr17
	s_wait_alu 0xfffe
	s_cbranch_vccnz .LBB55_71
; %bb.66:                               ;   in Loop: Header=BB55_57 Depth=1
	s_and_not1_b32 vcc_lo, exec_lo, s2
                                        ; implicit-def: $vgpr16_vgpr17
	s_wait_alu 0xfffe
	s_cbranch_vccnz .LBB55_68
; %bb.67:                               ;   in Loop: Header=BB55_57 Depth=1
	s_wait_loadcnt 0x0
	v_fma_f64 v[14:15], v[20:21], v[27:28], v[18:19]
	v_fma_f64 v[16:17], -v[18:19], v[27:28], v[20:21]
	s_mov_b32 s0, 0
	s_delay_alu instid0(VALU_DEP_2) | instskip(NEXT) | instid1(VALU_DEP_2)
	v_mul_f64_e32 v[14:15], v[14:15], v[33:34]
	v_mul_f64_e32 v[16:17], v[16:17], v[33:34]
.LBB55_68:                              ;   in Loop: Header=BB55_57 Depth=1
	s_wait_alu 0xfffe
	s_and_not1_b32 vcc_lo, exec_lo, s0
	s_wait_alu 0xfffe
	s_cbranch_vccnz .LBB55_70
; %bb.69:                               ;   in Loop: Header=BB55_57 Depth=1
	s_wait_loadcnt 0x0
	v_div_scale_f64 v[14:15], null, v[29:30], v[29:30], v[18:19]
	v_div_scale_f64 v[16:17], null, v[31:32], v[31:32], v[20:21]
	v_div_scale_f64 v[46:47], vcc_lo, v[18:19], v[29:30], v[18:19]
	s_delay_alu instid0(VALU_DEP_3) | instskip(NEXT) | instid1(VALU_DEP_2)
	v_rcp_f64_e32 v[38:39], v[14:15]
	v_rcp_f64_e32 v[40:41], v[16:17]
	s_delay_alu instid0(TRANS32_DEP_2) | instskip(NEXT) | instid1(TRANS32_DEP_1)
	v_fma_f64 v[42:43], -v[14:15], v[38:39], 1.0
	v_fma_f64 v[44:45], -v[16:17], v[40:41], 1.0
	s_delay_alu instid0(VALU_DEP_2) | instskip(NEXT) | instid1(VALU_DEP_2)
	v_fma_f64 v[38:39], v[38:39], v[42:43], v[38:39]
	v_fma_f64 v[40:41], v[40:41], v[44:45], v[40:41]
	s_delay_alu instid0(VALU_DEP_2) | instskip(NEXT) | instid1(VALU_DEP_2)
	v_fma_f64 v[42:43], -v[14:15], v[38:39], 1.0
	v_fma_f64 v[44:45], -v[16:17], v[40:41], 1.0
	s_delay_alu instid0(VALU_DEP_2) | instskip(SKIP_1) | instid1(VALU_DEP_3)
	v_fma_f64 v[38:39], v[38:39], v[42:43], v[38:39]
	v_div_scale_f64 v[42:43], s0, v[20:21], v[31:32], v[20:21]
	v_fma_f64 v[40:41], v[40:41], v[44:45], v[40:41]
	s_delay_alu instid0(VALU_DEP_3) | instskip(NEXT) | instid1(VALU_DEP_2)
	v_mul_f64_e32 v[44:45], v[46:47], v[38:39]
	v_mul_f64_e32 v[48:49], v[42:43], v[40:41]
	s_delay_alu instid0(VALU_DEP_2) | instskip(NEXT) | instid1(VALU_DEP_2)
	v_fma_f64 v[14:15], -v[14:15], v[44:45], v[46:47]
	v_fma_f64 v[16:17], -v[16:17], v[48:49], v[42:43]
	s_wait_alu 0xfffd
	s_delay_alu instid0(VALU_DEP_2) | instskip(SKIP_2) | instid1(VALU_DEP_2)
	v_div_fmas_f64 v[14:15], v[14:15], v[38:39], v[44:45]
	s_mov_b32 vcc_lo, s0
	s_wait_alu 0xfffe
	v_div_fmas_f64 v[16:17], v[16:17], v[40:41], v[48:49]
	s_delay_alu instid0(VALU_DEP_2) | instskip(NEXT) | instid1(VALU_DEP_2)
	v_div_fixup_f64 v[14:15], v[14:15], v[29:30], v[18:19]
	v_div_fixup_f64 v[16:17], v[16:17], v[31:32], v[20:21]
.LBB55_70:                              ;   in Loop: Header=BB55_57 Depth=1
	s_cbranch_execnz .LBB55_73
	s_branch .LBB55_72
.LBB55_71:                              ;   in Loop: Header=BB55_57 Depth=1
	s_and_not1_b32 vcc_lo, exec_lo, s0
	s_wait_alu 0xfffe
	s_cbranch_vccnz .LBB55_73
.LBB55_72:                              ;   in Loop: Header=BB55_57 Depth=1
	s_wait_loadcnt 0x0
	v_fma_f64 v[14:15], v[18:19], v[25:26], v[20:21]
	v_fma_f64 v[16:17], v[20:21], v[25:26], -v[18:19]
	s_delay_alu instid0(VALU_DEP_2) | instskip(NEXT) | instid1(VALU_DEP_2)
	v_mul_f64_e32 v[14:15], v[14:15], v[35:36]
	v_mul_f64_e32 v[16:17], v[16:17], v[35:36]
.LBB55_73:                              ;   in Loop: Header=BB55_57 Depth=1
	v_cmp_ne_u32_e32 vcc_lo, 1, v37
	s_mov_b32 s0, -1
                                        ; implicit-def: $vgpr20_vgpr21
	s_cbranch_vccnz .LBB55_79
; %bb.74:                               ;   in Loop: Header=BB55_57 Depth=1
	s_and_not1_b32 vcc_lo, exec_lo, s2
                                        ; implicit-def: $vgpr20_vgpr21
	s_wait_alu 0xfffe
	s_cbranch_vccnz .LBB55_76
; %bb.75:                               ;   in Loop: Header=BB55_57 Depth=1
	s_wait_loadcnt 0x1
	v_fma_f64 v[18:19], v[12:13], v[27:28], v[10:11]
	v_fma_f64 v[20:21], -v[10:11], v[27:28], v[12:13]
	s_mov_b32 s0, 0
	s_delay_alu instid0(VALU_DEP_2) | instskip(NEXT) | instid1(VALU_DEP_2)
	v_mul_f64_e32 v[18:19], v[18:19], v[33:34]
	v_mul_f64_e32 v[20:21], v[20:21], v[33:34]
.LBB55_76:                              ;   in Loop: Header=BB55_57 Depth=1
	s_wait_alu 0xfffe
	s_and_not1_b32 vcc_lo, exec_lo, s0
	s_wait_alu 0xfffe
	s_cbranch_vccnz .LBB55_78
; %bb.77:                               ;   in Loop: Header=BB55_57 Depth=1
	s_wait_loadcnt 0x1
	v_div_scale_f64 v[18:19], null, v[29:30], v[29:30], v[10:11]
	v_div_scale_f64 v[20:21], null, v[31:32], v[31:32], v[12:13]
	v_div_scale_f64 v[46:47], vcc_lo, v[10:11], v[29:30], v[10:11]
	s_delay_alu instid0(VALU_DEP_3) | instskip(NEXT) | instid1(VALU_DEP_2)
	v_rcp_f64_e32 v[38:39], v[18:19]
	v_rcp_f64_e32 v[40:41], v[20:21]
	s_delay_alu instid0(TRANS32_DEP_2) | instskip(NEXT) | instid1(TRANS32_DEP_1)
	v_fma_f64 v[42:43], -v[18:19], v[38:39], 1.0
	v_fma_f64 v[44:45], -v[20:21], v[40:41], 1.0
	s_delay_alu instid0(VALU_DEP_2) | instskip(NEXT) | instid1(VALU_DEP_2)
	v_fma_f64 v[38:39], v[38:39], v[42:43], v[38:39]
	v_fma_f64 v[40:41], v[40:41], v[44:45], v[40:41]
	s_delay_alu instid0(VALU_DEP_2) | instskip(NEXT) | instid1(VALU_DEP_2)
	v_fma_f64 v[42:43], -v[18:19], v[38:39], 1.0
	v_fma_f64 v[44:45], -v[20:21], v[40:41], 1.0
	s_delay_alu instid0(VALU_DEP_2) | instskip(SKIP_1) | instid1(VALU_DEP_3)
	v_fma_f64 v[38:39], v[38:39], v[42:43], v[38:39]
	v_div_scale_f64 v[42:43], s0, v[12:13], v[31:32], v[12:13]
	v_fma_f64 v[40:41], v[40:41], v[44:45], v[40:41]
	s_delay_alu instid0(VALU_DEP_3) | instskip(NEXT) | instid1(VALU_DEP_2)
	v_mul_f64_e32 v[44:45], v[46:47], v[38:39]
	v_mul_f64_e32 v[48:49], v[42:43], v[40:41]
	s_delay_alu instid0(VALU_DEP_2) | instskip(NEXT) | instid1(VALU_DEP_2)
	v_fma_f64 v[18:19], -v[18:19], v[44:45], v[46:47]
	v_fma_f64 v[20:21], -v[20:21], v[48:49], v[42:43]
	s_wait_alu 0xfffd
	s_delay_alu instid0(VALU_DEP_2) | instskip(SKIP_2) | instid1(VALU_DEP_2)
	v_div_fmas_f64 v[18:19], v[18:19], v[38:39], v[44:45]
	s_mov_b32 vcc_lo, s0
	s_wait_alu 0xfffe
	v_div_fmas_f64 v[20:21], v[20:21], v[40:41], v[48:49]
	s_delay_alu instid0(VALU_DEP_2) | instskip(NEXT) | instid1(VALU_DEP_2)
	v_div_fixup_f64 v[18:19], v[18:19], v[29:30], v[10:11]
	v_div_fixup_f64 v[20:21], v[20:21], v[31:32], v[12:13]
.LBB55_78:                              ;   in Loop: Header=BB55_57 Depth=1
	s_cbranch_execnz .LBB55_81
	s_branch .LBB55_80
.LBB55_79:                              ;   in Loop: Header=BB55_57 Depth=1
	s_wait_alu 0xfffe
	s_and_not1_b32 vcc_lo, exec_lo, s0
	s_wait_alu 0xfffe
	s_cbranch_vccnz .LBB55_81
.LBB55_80:                              ;   in Loop: Header=BB55_57 Depth=1
	s_wait_loadcnt 0x1
	v_fma_f64 v[18:19], v[10:11], v[25:26], v[12:13]
	v_fma_f64 v[10:11], v[12:13], v[25:26], -v[10:11]
	s_delay_alu instid0(VALU_DEP_2) | instskip(NEXT) | instid1(VALU_DEP_2)
	v_mul_f64_e32 v[18:19], v[18:19], v[35:36]
	v_mul_f64_e32 v[20:21], v[10:11], v[35:36]
.LBB55_81:                              ;   in Loop: Header=BB55_57 Depth=1
	v_cmp_ne_u32_e32 vcc_lo, 1, v37
	s_mov_b32 s0, -1
                                        ; implicit-def: $vgpr12_vgpr13
	s_cbranch_vccnz .LBB55_87
; %bb.82:                               ;   in Loop: Header=BB55_57 Depth=1
	s_and_not1_b32 vcc_lo, exec_lo, s2
                                        ; implicit-def: $vgpr12_vgpr13
	s_wait_alu 0xfffe
	s_cbranch_vccnz .LBB55_84
; %bb.83:                               ;   in Loop: Header=BB55_57 Depth=1
	s_wait_loadcnt 0x2
	v_fma_f64 v[10:11], v[4:5], v[27:28], v[2:3]
	v_fma_f64 v[12:13], -v[2:3], v[27:28], v[4:5]
	s_mov_b32 s0, 0
	s_delay_alu instid0(VALU_DEP_2) | instskip(NEXT) | instid1(VALU_DEP_2)
	v_mul_f64_e32 v[10:11], v[10:11], v[33:34]
	v_mul_f64_e32 v[12:13], v[12:13], v[33:34]
.LBB55_84:                              ;   in Loop: Header=BB55_57 Depth=1
	s_wait_alu 0xfffe
	s_and_not1_b32 vcc_lo, exec_lo, s0
	s_wait_alu 0xfffe
	s_cbranch_vccnz .LBB55_86
; %bb.85:                               ;   in Loop: Header=BB55_57 Depth=1
	s_wait_loadcnt 0x2
	v_div_scale_f64 v[10:11], null, v[29:30], v[29:30], v[2:3]
	v_div_scale_f64 v[12:13], null, v[31:32], v[31:32], v[4:5]
	v_div_scale_f64 v[41:42], vcc_lo, v[2:3], v[29:30], v[2:3]
	s_delay_alu instid0(VALU_DEP_3) | instskip(NEXT) | instid1(VALU_DEP_2)
	v_rcp_f64_e32 v[27:28], v[10:11]
	v_rcp_f64_e32 v[33:34], v[12:13]
	s_delay_alu instid0(TRANS32_DEP_2) | instskip(NEXT) | instid1(TRANS32_DEP_1)
	v_fma_f64 v[37:38], -v[10:11], v[27:28], 1.0
	v_fma_f64 v[39:40], -v[12:13], v[33:34], 1.0
	s_delay_alu instid0(VALU_DEP_2) | instskip(NEXT) | instid1(VALU_DEP_2)
	v_fma_f64 v[27:28], v[27:28], v[37:38], v[27:28]
	v_fma_f64 v[33:34], v[33:34], v[39:40], v[33:34]
	s_delay_alu instid0(VALU_DEP_2) | instskip(NEXT) | instid1(VALU_DEP_2)
	v_fma_f64 v[37:38], -v[10:11], v[27:28], 1.0
	v_fma_f64 v[39:40], -v[12:13], v[33:34], 1.0
	s_delay_alu instid0(VALU_DEP_2) | instskip(SKIP_1) | instid1(VALU_DEP_3)
	v_fma_f64 v[27:28], v[27:28], v[37:38], v[27:28]
	v_div_scale_f64 v[37:38], s0, v[4:5], v[31:32], v[4:5]
	v_fma_f64 v[33:34], v[33:34], v[39:40], v[33:34]
	s_delay_alu instid0(VALU_DEP_3) | instskip(NEXT) | instid1(VALU_DEP_2)
	v_mul_f64_e32 v[39:40], v[41:42], v[27:28]
	v_mul_f64_e32 v[43:44], v[37:38], v[33:34]
	s_delay_alu instid0(VALU_DEP_2) | instskip(NEXT) | instid1(VALU_DEP_2)
	v_fma_f64 v[10:11], -v[10:11], v[39:40], v[41:42]
	v_fma_f64 v[12:13], -v[12:13], v[43:44], v[37:38]
	s_wait_alu 0xfffd
	s_delay_alu instid0(VALU_DEP_2) | instskip(SKIP_2) | instid1(VALU_DEP_2)
	v_div_fmas_f64 v[10:11], v[10:11], v[27:28], v[39:40]
	s_mov_b32 vcc_lo, s0
	s_wait_alu 0xfffe
	v_div_fmas_f64 v[12:13], v[12:13], v[33:34], v[43:44]
	s_delay_alu instid0(VALU_DEP_2) | instskip(NEXT) | instid1(VALU_DEP_2)
	v_div_fixup_f64 v[10:11], v[10:11], v[29:30], v[2:3]
	v_div_fixup_f64 v[12:13], v[12:13], v[31:32], v[4:5]
.LBB55_86:                              ;   in Loop: Header=BB55_57 Depth=1
	s_cbranch_execnz .LBB55_56
	s_branch .LBB55_88
.LBB55_87:                              ;   in Loop: Header=BB55_57 Depth=1
	s_wait_alu 0xfffe
	s_and_not1_b32 vcc_lo, exec_lo, s0
	s_wait_alu 0xfffe
	s_cbranch_vccnz .LBB55_56
.LBB55_88:                              ;   in Loop: Header=BB55_57 Depth=1
	s_wait_loadcnt 0x2
	v_fma_f64 v[10:11], v[2:3], v[25:26], v[4:5]
	v_fma_f64 v[2:3], v[4:5], v[25:26], -v[2:3]
	s_delay_alu instid0(VALU_DEP_2) | instskip(NEXT) | instid1(VALU_DEP_2)
	v_mul_f64_e32 v[10:11], v[10:11], v[35:36]
	v_mul_f64_e32 v[12:13], v[2:3], v[35:36]
	s_branch .LBB55_56
.LBB55_89:
	s_endpgm
	.section	.rodata,"a",@progbits
	.p2align	6, 0x0
	.amdhsa_kernel _ZN2at6native12_GLOBAL__N_125multi_tensor_apply_kernelINS1_18TensorListMetadataILi1EEENS1_27BinaryOpScalarTensorFunctorIN3c107complexIdEELi1ELi1ELi0EEEJSt7dividesIS8_EPS8_S8_EEEvT_T0_DpT1_
		.amdhsa_group_segment_fixed_size 0
		.amdhsa_private_segment_fixed_size 0
		.amdhsa_kernarg_size 3664
		.amdhsa_user_sgpr_count 2
		.amdhsa_user_sgpr_dispatch_ptr 0
		.amdhsa_user_sgpr_queue_ptr 0
		.amdhsa_user_sgpr_kernarg_segment_ptr 1
		.amdhsa_user_sgpr_dispatch_id 0
		.amdhsa_user_sgpr_private_segment_size 0
		.amdhsa_wavefront_size32 1
		.amdhsa_uses_dynamic_stack 0
		.amdhsa_enable_private_segment 0
		.amdhsa_system_sgpr_workgroup_id_x 1
		.amdhsa_system_sgpr_workgroup_id_y 0
		.amdhsa_system_sgpr_workgroup_id_z 0
		.amdhsa_system_sgpr_workgroup_info 0
		.amdhsa_system_vgpr_workitem_id 0
		.amdhsa_next_free_vgpr 60
		.amdhsa_next_free_sgpr 36
		.amdhsa_reserve_vcc 1
		.amdhsa_float_round_mode_32 0
		.amdhsa_float_round_mode_16_64 0
		.amdhsa_float_denorm_mode_32 3
		.amdhsa_float_denorm_mode_16_64 3
		.amdhsa_fp16_overflow 0
		.amdhsa_workgroup_processor_mode 1
		.amdhsa_memory_ordered 1
		.amdhsa_forward_progress 1
		.amdhsa_inst_pref_size 42
		.amdhsa_round_robin_scheduling 0
		.amdhsa_exception_fp_ieee_invalid_op 0
		.amdhsa_exception_fp_denorm_src 0
		.amdhsa_exception_fp_ieee_div_zero 0
		.amdhsa_exception_fp_ieee_overflow 0
		.amdhsa_exception_fp_ieee_underflow 0
		.amdhsa_exception_fp_ieee_inexact 0
		.amdhsa_exception_int_div_zero 0
	.end_amdhsa_kernel
	.section	.text._ZN2at6native12_GLOBAL__N_125multi_tensor_apply_kernelINS1_18TensorListMetadataILi1EEENS1_27BinaryOpScalarTensorFunctorIN3c107complexIdEELi1ELi1ELi0EEEJSt7dividesIS8_EPS8_S8_EEEvT_T0_DpT1_,"axG",@progbits,_ZN2at6native12_GLOBAL__N_125multi_tensor_apply_kernelINS1_18TensorListMetadataILi1EEENS1_27BinaryOpScalarTensorFunctorIN3c107complexIdEELi1ELi1ELi0EEEJSt7dividesIS8_EPS8_S8_EEEvT_T0_DpT1_,comdat
.Lfunc_end55:
	.size	_ZN2at6native12_GLOBAL__N_125multi_tensor_apply_kernelINS1_18TensorListMetadataILi1EEENS1_27BinaryOpScalarTensorFunctorIN3c107complexIdEELi1ELi1ELi0EEEJSt7dividesIS8_EPS8_S8_EEEvT_T0_DpT1_, .Lfunc_end55-_ZN2at6native12_GLOBAL__N_125multi_tensor_apply_kernelINS1_18TensorListMetadataILi1EEENS1_27BinaryOpScalarTensorFunctorIN3c107complexIdEELi1ELi1ELi0EEEJSt7dividesIS8_EPS8_S8_EEEvT_T0_DpT1_
                                        ; -- End function
	.set _ZN2at6native12_GLOBAL__N_125multi_tensor_apply_kernelINS1_18TensorListMetadataILi1EEENS1_27BinaryOpScalarTensorFunctorIN3c107complexIdEELi1ELi1ELi0EEEJSt7dividesIS8_EPS8_S8_EEEvT_T0_DpT1_.num_vgpr, 60
	.set _ZN2at6native12_GLOBAL__N_125multi_tensor_apply_kernelINS1_18TensorListMetadataILi1EEENS1_27BinaryOpScalarTensorFunctorIN3c107complexIdEELi1ELi1ELi0EEEJSt7dividesIS8_EPS8_S8_EEEvT_T0_DpT1_.num_agpr, 0
	.set _ZN2at6native12_GLOBAL__N_125multi_tensor_apply_kernelINS1_18TensorListMetadataILi1EEENS1_27BinaryOpScalarTensorFunctorIN3c107complexIdEELi1ELi1ELi0EEEJSt7dividesIS8_EPS8_S8_EEEvT_T0_DpT1_.numbered_sgpr, 36
	.set _ZN2at6native12_GLOBAL__N_125multi_tensor_apply_kernelINS1_18TensorListMetadataILi1EEENS1_27BinaryOpScalarTensorFunctorIN3c107complexIdEELi1ELi1ELi0EEEJSt7dividesIS8_EPS8_S8_EEEvT_T0_DpT1_.num_named_barrier, 0
	.set _ZN2at6native12_GLOBAL__N_125multi_tensor_apply_kernelINS1_18TensorListMetadataILi1EEENS1_27BinaryOpScalarTensorFunctorIN3c107complexIdEELi1ELi1ELi0EEEJSt7dividesIS8_EPS8_S8_EEEvT_T0_DpT1_.private_seg_size, 0
	.set _ZN2at6native12_GLOBAL__N_125multi_tensor_apply_kernelINS1_18TensorListMetadataILi1EEENS1_27BinaryOpScalarTensorFunctorIN3c107complexIdEELi1ELi1ELi0EEEJSt7dividesIS8_EPS8_S8_EEEvT_T0_DpT1_.uses_vcc, 1
	.set _ZN2at6native12_GLOBAL__N_125multi_tensor_apply_kernelINS1_18TensorListMetadataILi1EEENS1_27BinaryOpScalarTensorFunctorIN3c107complexIdEELi1ELi1ELi0EEEJSt7dividesIS8_EPS8_S8_EEEvT_T0_DpT1_.uses_flat_scratch, 0
	.set _ZN2at6native12_GLOBAL__N_125multi_tensor_apply_kernelINS1_18TensorListMetadataILi1EEENS1_27BinaryOpScalarTensorFunctorIN3c107complexIdEELi1ELi1ELi0EEEJSt7dividesIS8_EPS8_S8_EEEvT_T0_DpT1_.has_dyn_sized_stack, 0
	.set _ZN2at6native12_GLOBAL__N_125multi_tensor_apply_kernelINS1_18TensorListMetadataILi1EEENS1_27BinaryOpScalarTensorFunctorIN3c107complexIdEELi1ELi1ELi0EEEJSt7dividesIS8_EPS8_S8_EEEvT_T0_DpT1_.has_recursion, 0
	.set _ZN2at6native12_GLOBAL__N_125multi_tensor_apply_kernelINS1_18TensorListMetadataILi1EEENS1_27BinaryOpScalarTensorFunctorIN3c107complexIdEELi1ELi1ELi0EEEJSt7dividesIS8_EPS8_S8_EEEvT_T0_DpT1_.has_indirect_call, 0
	.section	.AMDGPU.csdata,"",@progbits
; Kernel info:
; codeLenInByte = 5288
; TotalNumSgprs: 38
; NumVgprs: 60
; ScratchSize: 0
; MemoryBound: 1
; FloatMode: 240
; IeeeMode: 1
; LDSByteSize: 0 bytes/workgroup (compile time only)
; SGPRBlocks: 0
; VGPRBlocks: 7
; NumSGPRsForWavesPerEU: 38
; NumVGPRsForWavesPerEU: 60
; Occupancy: 16
; WaveLimiterHint : 0
; COMPUTE_PGM_RSRC2:SCRATCH_EN: 0
; COMPUTE_PGM_RSRC2:USER_SGPR: 2
; COMPUTE_PGM_RSRC2:TRAP_HANDLER: 0
; COMPUTE_PGM_RSRC2:TGID_X_EN: 1
; COMPUTE_PGM_RSRC2:TGID_Y_EN: 0
; COMPUTE_PGM_RSRC2:TGID_Z_EN: 0
; COMPUTE_PGM_RSRC2:TIDIG_COMP_CNT: 0
	.section	.text._ZN2at6native12_GLOBAL__N_125multi_tensor_apply_kernelINS1_18TensorListMetadataILi1EEENS1_27BinaryOpScalarTensorFunctorIN3c107complexIfEELi1ELi1ELi0EEEJSt7dividesIS8_EPS8_S8_EEEvT_T0_DpT1_,"axG",@progbits,_ZN2at6native12_GLOBAL__N_125multi_tensor_apply_kernelINS1_18TensorListMetadataILi1EEENS1_27BinaryOpScalarTensorFunctorIN3c107complexIfEELi1ELi1ELi0EEEJSt7dividesIS8_EPS8_S8_EEEvT_T0_DpT1_,comdat
	.globl	_ZN2at6native12_GLOBAL__N_125multi_tensor_apply_kernelINS1_18TensorListMetadataILi1EEENS1_27BinaryOpScalarTensorFunctorIN3c107complexIfEELi1ELi1ELi0EEEJSt7dividesIS8_EPS8_S8_EEEvT_T0_DpT1_ ; -- Begin function _ZN2at6native12_GLOBAL__N_125multi_tensor_apply_kernelINS1_18TensorListMetadataILi1EEENS1_27BinaryOpScalarTensorFunctorIN3c107complexIfEELi1ELi1ELi0EEEJSt7dividesIS8_EPS8_S8_EEEvT_T0_DpT1_
	.p2align	8
	.type	_ZN2at6native12_GLOBAL__N_125multi_tensor_apply_kernelINS1_18TensorListMetadataILi1EEENS1_27BinaryOpScalarTensorFunctorIN3c107complexIfEELi1ELi1ELi0EEEJSt7dividesIS8_EPS8_S8_EEEvT_T0_DpT1_,@function
_ZN2at6native12_GLOBAL__N_125multi_tensor_apply_kernelINS1_18TensorListMetadataILi1EEENS1_27BinaryOpScalarTensorFunctorIN3c107complexIfEELi1ELi1ELi0EEEJSt7dividesIS8_EPS8_S8_EEEvT_T0_DpT1_: ; @_ZN2at6native12_GLOBAL__N_125multi_tensor_apply_kernelINS1_18TensorListMetadataILi1EEENS1_27BinaryOpScalarTensorFunctorIN3c107complexIfEELi1ELi1ELi0EEEJSt7dividesIS8_EPS8_S8_EEEvT_T0_DpT1_
; %bb.0:
	s_mov_b32 s2, ttmp9
	s_mov_b32 s3, 0
	s_delay_alu instid0(SALU_CYCLE_1)
	s_mul_u64 s[4:5], s[2:3], 3
	s_add_nc_u64 s[6:7], s[0:1], s[2:3]
	s_mov_b32 s17, s3
	s_add_nc_u64 s[4:5], s[6:7], s[4:5]
	s_clause 0x1
	s_load_b32 s4, s[4:5], 0x820
	s_load_u8 s2, s[0:1], ttmp9 offset:0x6e0
	s_wait_kmcnt 0x0
	s_ashr_i32 s5, s4, 31
	s_lshl_b32 s2, s2, 3
	s_clause 0x2
	s_load_b64 s[12:13], s[0:1], s2 offset:0x0
	s_load_b64 s[6:7], s[0:1], s2 offset:0x370
	s_load_b128 s[8:11], s[0:1], 0xd30
	s_lshl_b64 s[14:15], s[4:5], 19
	s_lshl_b64 s[4:5], s[4:5], 16
	s_wait_kmcnt 0x0
	s_add_nc_u64 s[18:19], s[12:13], s[14:15]
	s_and_b32 s16, s6, 3
	s_and_b32 s2, s18, 31
	s_delay_alu instid0(SALU_CYCLE_1)
	s_or_b64 s[2:3], s[2:3], s[16:17]
	s_sub_nc_u64 s[16:17], s[6:7], s[4:5]
	s_cmp_eq_u64 s[2:3], 0
	s_cbranch_scc1 .LBB56_53
; %bb.1:
	v_cmp_lt_i64_e64 s2, s[16:17], 1
	s_and_b32 vcc_lo, exec_lo, s2
	s_cbranch_vccnz .LBB56_52
; %bb.2:
	s_load_b32 s2, s[0:1], 0xd4c
	v_cmp_gt_i64_e64 s3, 0x10000, s[16:17]
	v_cmp_gt_u64_e64 s4, 0x10000, s[16:17]
	v_dual_mov_b32 v2, 0 :: v_dual_lshlrev_b32 v1, 3, v0
	s_mov_b32 s21, 0
	s_mov_b64 s[28:29], 0
	s_and_b32 s3, s3, exec_lo
	s_cselect_b32 s23, s17, 0
	s_cselect_b32 s22, s16, 0x10000
	s_mov_b32 s27, s21
	s_wait_kmcnt 0x0
	s_and_b32 s2, s2, 0xffff
	s_and_b32 s3, s4, exec_lo
	s_mul_i32 s4, s2, 3
	v_add_co_u32 v15, s5, v0, s2
	v_mad_co_u64_u32 v[3:4], null, s2, 24, v[1:2]
	s_cselect_b32 s25, s17, 0
	s_cselect_b32 s24, s16, 0x10000
	v_add_co_ci_u32_e64 v16, null, 0, 0, s5
	s_lshl_b32 s5, s2, 4
	v_add_co_u32 v17, s4, s4, v0
	s_wait_alu 0xf1ff
	v_add_co_ci_u32_e64 v18, null, 0, 0, s4
	s_wait_alu 0xfffe
	v_add_co_u32 v5, s4, s5, v1
	s_lshl_b32 s3, s2, 1
	v_lshlrev_b32_e32 v19, 3, v15
	s_wait_alu 0xfffe
	v_add_co_u32 v22, s3, s3, v0
	v_or_b32_e32 v3, 4, v3
	v_add_co_ci_u32_e64 v20, null, 0, 0, s4
	v_or_b32_e32 v21, 4, v5
	s_wait_alu 0xf1ff
	v_add_co_ci_u32_e64 v23, null, 0, 0, s3
	s_lshl_b32 s20, s2, 2
	s_lshl_b32 s26, s2, 5
	s_branch .LBB56_4
.LBB56_3:                               ;   in Loop: Header=BB56_4 Depth=1
	s_wait_alu 0xfffe
	s_or_b32 exec_lo, exec_lo, s2
	s_add_nc_u64 s[28:29], s[28:29], s[20:21]
	s_add_nc_u64 s[18:19], s[18:19], s[26:27]
	s_wait_alu 0xfffe
	v_cmp_ge_i64_e64 s2, s[28:29], s[22:23]
	s_and_b32 vcc_lo, exec_lo, s2
	s_wait_alu 0xfffe
	s_cbranch_vccnz .LBB56_52
.LBB56_4:                               ; =>This Inner Loop Header: Depth=1
	v_add_co_u32 v5, s2, v0, s28
	s_wait_alu 0xf1ff
	v_add_co_ci_u32_e64 v6, null, 0, s29, s2
	v_dual_mov_b32 v14, 0 :: v_dual_mov_b32 v13, 0
	s_delay_alu instid0(VALU_DEP_2)
	v_cmp_gt_u64_e64 s2, s[24:25], v[5:6]
	s_and_saveexec_b32 s3, s2
	s_cbranch_execz .LBB56_6
; %bb.5:                                ;   in Loop: Header=BB56_4 Depth=1
	v_add_co_u32 v5, s4, s18, v1
	s_wait_alu 0xf1ff
	v_add_co_ci_u32_e64 v6, null, s19, 0, s4
	global_load_b64 v[13:14], v[5:6], off
.LBB56_6:                               ;   in Loop: Header=BB56_4 Depth=1
	s_wait_alu 0xfffe
	s_or_b32 exec_lo, exec_lo, s3
	v_add_co_u32 v5, vcc_lo, v15, s28
	s_wait_alu 0xfffd
	v_add_co_ci_u32_e64 v6, null, s29, v16, vcc_lo
	v_dual_mov_b32 v8, 0 :: v_dual_mov_b32 v11, 0
	v_mov_b32_e32 v12, 0
	s_delay_alu instid0(VALU_DEP_3)
	v_cmp_gt_u64_e64 s3, s[24:25], v[5:6]
	s_and_saveexec_b32 s4, s3
	s_cbranch_execz .LBB56_8
; %bb.7:                                ;   in Loop: Header=BB56_4 Depth=1
	v_add_co_u32 v5, s5, s18, v19
	s_wait_alu 0xf1ff
	v_add_co_ci_u32_e64 v6, null, s19, 0, s5
	global_load_b64 v[11:12], v[5:6], off
.LBB56_8:                               ;   in Loop: Header=BB56_4 Depth=1
	s_wait_alu 0xfffe
	s_or_b32 exec_lo, exec_lo, s4
	v_add_co_u32 v5, vcc_lo, v22, s28
	s_wait_alu 0xfffd
	v_add_co_ci_u32_e64 v6, null, s29, v23, vcc_lo
	v_mov_b32_e32 v7, 0
	s_delay_alu instid0(VALU_DEP_2)
	v_cmp_gt_u64_e64 s4, s[24:25], v[5:6]
	s_and_saveexec_b32 s5, s4
	s_cbranch_execz .LBB56_10
; %bb.9:                                ;   in Loop: Header=BB56_4 Depth=1
	v_add_co_u32 v5, vcc_lo, s18, v21
	s_wait_alu 0xfffd
	v_add_co_ci_u32_e64 v6, null, s19, v20, vcc_lo
	global_load_b64 v[7:8], v[5:6], off offset:-4
.LBB56_10:                              ;   in Loop: Header=BB56_4 Depth=1
	s_wait_alu 0xfffe
	s_or_b32 exec_lo, exec_lo, s5
	v_add_co_u32 v5, vcc_lo, v17, s28
	s_wait_alu 0xfffd
	v_add_co_ci_u32_e64 v6, null, s29, v18, vcc_lo
	s_delay_alu instid0(VALU_DEP_1)
	v_cmp_gt_u64_e64 s5, s[24:25], v[5:6]
	v_dual_mov_b32 v6, 0 :: v_dual_mov_b32 v5, 0
	s_and_saveexec_b32 s6, s5
	s_cbranch_execz .LBB56_12
; %bb.11:                               ;   in Loop: Header=BB56_4 Depth=1
	v_add_co_u32 v5, vcc_lo, s18, v3
	s_wait_alu 0xfffd
	v_add_co_ci_u32_e64 v6, null, s19, v4, vcc_lo
	global_load_b64 v[5:6], v[5:6], off offset:-4
.LBB56_12:                              ;   in Loop: Header=BB56_4 Depth=1
	s_wait_alu 0xfffe
	s_or_b32 exec_lo, exec_lo, s6
	global_load_b64 v[9:10], v2, s[8:9]
	s_wait_loadcnt 0x0
	v_readfirstlane_b32 s6, v10
	v_readfirstlane_b32 s7, v9
	s_mul_f32 s30, s6, s11
	s_mul_f32 s31, s6, s10
	s_wait_alu 0xfffe
	s_delay_alu instid0(SALU_CYCLE_1) | instskip(NEXT) | instid1(SALU_CYCLE_1)
	s_xor_b32 s34, s30, 0x80000000
	s_fmac_f32 s31, s7, s11
	s_wait_alu 0xfffe
	s_fmac_f32 s34, s7, s10
	s_wait_alu 0xfffe
	s_delay_alu instid0(SALU_CYCLE_2) | instskip(SKIP_1) | instid1(VALU_DEP_2)
	v_div_scale_f32 v9, null, s34, s34, s31
	v_div_scale_f32 v25, vcc_lo, s31, s34, s31
	v_rcp_f32_e32 v10, v9
	v_xor_b32_e32 v9, 0x80000000, v9
	s_delay_alu instid0(TRANS32_DEP_1) | instid1(VALU_DEP_1)
	v_fma_f32 v24, v9, v10, 1.0
	s_delay_alu instid0(VALU_DEP_1) | instskip(NEXT) | instid1(VALU_DEP_1)
	v_fmac_f32_e32 v10, v24, v10
	v_mul_f32_e32 v24, v25, v10
	s_delay_alu instid0(VALU_DEP_1) | instskip(NEXT) | instid1(VALU_DEP_1)
	v_fma_f32 v26, v9, v24, v25
	v_fmac_f32_e32 v24, v26, v10
	s_delay_alu instid0(VALU_DEP_1) | instskip(SKIP_1) | instid1(VALU_DEP_1)
	v_fmac_f32_e32 v25, v9, v24
	s_wait_alu 0xfffd
	v_div_fmas_f32 v9, v25, v10, v24
	v_div_scale_f32 v24, null, s31, s31, s34
	s_delay_alu instid0(VALU_DEP_2) | instskip(NEXT) | instid1(VALU_DEP_2)
	v_div_fixup_f32 v25, v9, s34, s31
	v_rcp_f32_e32 v27, v24
	v_xor_b32_e32 v24, 0x80000000, v24
	s_delay_alu instid0(VALU_DEP_2) | instskip(NEXT) | instid1(VALU_DEP_1)
	v_fma_f32 v9, s31, v25, s34
	v_div_scale_f32 v10, null, v9, v9, 1.0
	s_delay_alu instid0(TRANS32_DEP_1) | instid1(VALU_DEP_3)
	v_fma_f32 v29, v24, v27, 1.0
	v_div_scale_f32 v30, vcc_lo, 1.0, v9, 1.0
	s_delay_alu instid0(VALU_DEP_3) | instskip(SKIP_1) | instid1(VALU_DEP_3)
	v_rcp_f32_e32 v26, v10
	v_xor_b32_e32 v10, 0x80000000, v10
	v_fmac_f32_e32 v27, v29, v27
	s_delay_alu instid0(TRANS32_DEP_1) | instid1(VALU_DEP_2)
	v_fma_f32 v28, v10, v26, 1.0
	s_delay_alu instid0(VALU_DEP_1) | instskip(SKIP_1) | instid1(VALU_DEP_1)
	v_fmac_f32_e32 v26, v28, v26
	v_div_scale_f32 v28, s6, s34, s31, s34
	v_mul_f32_e32 v31, v28, v27
	s_delay_alu instid0(VALU_DEP_1) | instskip(NEXT) | instid1(VALU_DEP_1)
	v_fma_f32 v33, v24, v31, v28
	v_fmac_f32_e32 v31, v33, v27
	s_delay_alu instid0(VALU_DEP_1) | instskip(NEXT) | instid1(VALU_DEP_1)
	v_dual_mul_f32 v29, v30, v26 :: v_dual_fmac_f32 v28, v24, v31
	v_fma_f32 v32, v10, v29, v30
	s_delay_alu instid0(VALU_DEP_1) | instskip(NEXT) | instid1(VALU_DEP_1)
	v_fmac_f32_e32 v29, v32, v26
	v_fmac_f32_e32 v30, v10, v29
	s_wait_alu 0xfffd
	s_delay_alu instid0(VALU_DEP_1)
	v_div_fmas_f32 v10, v30, v26, v29
	s_mov_b32 vcc_lo, s6
	s_xor_b32 s6, s34, 0x80000000
	s_wait_alu 0xfffe
	v_div_fmas_f32 v24, v28, v27, v31
	s_cmp_lt_f32 s34, 0
	s_delay_alu instid0(VALU_DEP_1) | instskip(SKIP_3) | instid1(VALU_DEP_1)
	v_div_fixup_f32 v24, v24, s31, s34
	s_cselect_b32 s7, s6, s34
	s_xor_b32 s6, s31, 0x80000000
	s_cmp_lt_f32 s31, 0
	v_fma_f32 v27, s34, v24, s31
	s_wait_alu 0xfffe
	s_cselect_b32 s30, s6, s31
	s_wait_alu 0xfffe
	s_cmp_ge_f32 s7, s30
	v_div_scale_f32 v26, null, v27, v27, 1.0
	v_div_scale_f32 v30, vcc_lo, 1.0, v27, 1.0
	s_cselect_b32 s33, -1, 0
	v_rcp_f32_e32 v28, v26
	v_xor_b32_e32 v26, 0x80000000, v26
	s_cmp_neq_f32 s34, 0
	s_cselect_b32 s6, -1, 0
	s_cmp_neq_f32 s31, 0
	s_delay_alu instid0(TRANS32_DEP_1) | instid1(VALU_DEP_1)
	v_fma_f32 v29, v26, v28, 1.0
	s_cselect_b32 s31, -1, 0
	s_wait_alu 0xfffe
	s_or_b32 s31, s6, s31
	s_mov_b32 s6, -1
	v_fmac_f32_e32 v28, v29, v28
	s_delay_alu instid0(VALU_DEP_1) | instskip(NEXT) | instid1(VALU_DEP_1)
	v_mul_f32_e32 v29, v30, v28
	v_fma_f32 v31, v26, v29, v30
	s_delay_alu instid0(VALU_DEP_1) | instskip(NEXT) | instid1(VALU_DEP_1)
	v_fmac_f32_e32 v29, v31, v28
	v_fmac_f32_e32 v30, v26, v29
	v_div_fixup_f32 v26, v10, v9, 1.0
                                        ; implicit-def: $vgpr10
	s_wait_alu 0xfffd
	s_delay_alu instid0(VALU_DEP_2)
	v_div_fmas_f32 v28, v30, v28, v29
	s_and_b32 vcc_lo, exec_lo, s33
	s_wait_alu 0xfffe
	s_cbranch_vccz .LBB56_18
; %bb.13:                               ;   in Loop: Header=BB56_4 Depth=1
	s_and_b32 vcc_lo, exec_lo, s31
                                        ; implicit-def: $vgpr10
	s_wait_alu 0xfffe
	s_cbranch_vccz .LBB56_15
; %bb.14:                               ;   in Loop: Header=BB56_4 Depth=1
	v_fma_f32 v9, v14, v25, v13
	v_fma_f32 v10, -v13, v25, v14
	s_mov_b32 s6, 0
	s_delay_alu instid0(VALU_DEP_2) | instskip(NEXT) | instid1(VALU_DEP_2)
	v_mul_f32_e32 v9, v9, v26
	v_mul_f32_e32 v10, v10, v26
.LBB56_15:                              ;   in Loop: Header=BB56_4 Depth=1
	s_wait_alu 0xfffe
	s_and_not1_b32 vcc_lo, exec_lo, s6
	s_wait_alu 0xfffe
	s_cbranch_vccnz .LBB56_17
; %bb.16:                               ;   in Loop: Header=BB56_4 Depth=1
	v_div_scale_f32 v9, null, s7, s7, v13
	v_div_scale_f32 v10, null, s30, s30, v14
	v_div_scale_f32 v33, vcc_lo, v13, s7, v13
	s_delay_alu instid0(VALU_DEP_3) | instskip(NEXT) | instid1(VALU_DEP_2)
	v_rcp_f32_e32 v29, v9
	v_rcp_f32_e32 v30, v10
	s_delay_alu instid0(TRANS32_DEP_2) | instskip(NEXT) | instid1(TRANS32_DEP_1)
	v_fma_f32 v31, -v9, v29, 1.0
	v_fma_f32 v32, -v10, v30, 1.0
	s_delay_alu instid0(VALU_DEP_1) | instskip(SKIP_1) | instid1(VALU_DEP_2)
	v_dual_fmac_f32 v29, v31, v29 :: v_dual_fmac_f32 v30, v32, v30
	v_div_scale_f32 v31, s6, v14, s30, v14
	v_mul_f32_e32 v32, v33, v29
	s_delay_alu instid0(VALU_DEP_2) | instskip(NEXT) | instid1(VALU_DEP_2)
	v_mul_f32_e32 v34, v31, v30
	v_fma_f32 v35, -v9, v32, v33
	s_delay_alu instid0(VALU_DEP_2) | instskip(NEXT) | instid1(VALU_DEP_2)
	v_fma_f32 v36, -v10, v34, v31
	v_fmac_f32_e32 v32, v35, v29
	s_delay_alu instid0(VALU_DEP_2) | instskip(NEXT) | instid1(VALU_DEP_2)
	v_fmac_f32_e32 v34, v36, v30
	v_fma_f32 v9, -v9, v32, v33
	s_delay_alu instid0(VALU_DEP_2) | instskip(SKIP_1) | instid1(VALU_DEP_2)
	v_fma_f32 v10, -v10, v34, v31
	s_wait_alu 0xfffd
	v_div_fmas_f32 v9, v9, v29, v32
	s_mov_b32 vcc_lo, s6
	s_wait_alu 0xfffe
	v_div_fmas_f32 v10, v10, v30, v34
	s_delay_alu instid0(VALU_DEP_2) | instskip(NEXT) | instid1(VALU_DEP_2)
	v_div_fixup_f32 v9, v9, s7, v13
	v_div_fixup_f32 v10, v10, s30, v14
.LBB56_17:                              ;   in Loop: Header=BB56_4 Depth=1
	s_mov_b32 s6, 0
.LBB56_18:                              ;   in Loop: Header=BB56_4 Depth=1
	s_delay_alu instid0(VALU_DEP_1)
	v_div_fixup_f32 v27, v28, v27, 1.0
	s_wait_alu 0xfffe
	s_and_not1_b32 vcc_lo, exec_lo, s6
	s_wait_alu 0xfffe
	s_cbranch_vccnz .LBB56_20
; %bb.19:                               ;   in Loop: Header=BB56_4 Depth=1
	v_fma_f32 v9, v13, v24, v14
	v_fma_f32 v10, v14, v24, -v13
	s_delay_alu instid0(VALU_DEP_2) | instskip(NEXT) | instid1(VALU_DEP_2)
	v_mul_f32_e32 v9, v9, v27
	v_mul_f32_e32 v10, v10, v27
.LBB56_20:                              ;   in Loop: Header=BB56_4 Depth=1
	v_cndmask_b32_e64 v28, 0, 1, s31
	v_cndmask_b32_e64 v29, 0, 1, s33
	s_and_not1_b32 vcc_lo, exec_lo, s33
	s_mov_b32 s33, -1
                                        ; implicit-def: $vgpr14
	s_delay_alu instid0(VALU_DEP_2)
	v_cmp_ne_u32_e64 s6, 1, v28
	s_wait_alu 0xfffe
	s_cbranch_vccnz .LBB56_26
; %bb.21:                               ;   in Loop: Header=BB56_4 Depth=1
	s_and_b32 vcc_lo, exec_lo, s6
	s_mov_b32 s6, -1
                                        ; implicit-def: $vgpr14
	s_wait_alu 0xfffe
	s_cbranch_vccnz .LBB56_23
; %bb.22:                               ;   in Loop: Header=BB56_4 Depth=1
	v_fma_f32 v13, v12, v25, v11
	v_fma_f32 v14, -v11, v25, v12
	s_mov_b32 s6, 0
	s_delay_alu instid0(VALU_DEP_2) | instskip(NEXT) | instid1(VALU_DEP_2)
	v_mul_f32_e32 v13, v13, v26
	v_mul_f32_e32 v14, v14, v26
.LBB56_23:                              ;   in Loop: Header=BB56_4 Depth=1
	s_wait_alu 0xfffe
	s_and_not1_b32 vcc_lo, exec_lo, s6
	s_wait_alu 0xfffe
	s_cbranch_vccnz .LBB56_25
; %bb.24:                               ;   in Loop: Header=BB56_4 Depth=1
	v_div_scale_f32 v13, null, s7, s7, v11
	v_div_scale_f32 v14, null, s30, s30, v12
	v_div_scale_f32 v34, vcc_lo, v11, s7, v11
	s_delay_alu instid0(VALU_DEP_3) | instskip(NEXT) | instid1(VALU_DEP_2)
	v_rcp_f32_e32 v30, v13
	v_rcp_f32_e32 v31, v14
	s_delay_alu instid0(TRANS32_DEP_2) | instskip(NEXT) | instid1(TRANS32_DEP_1)
	v_fma_f32 v32, -v13, v30, 1.0
	v_fma_f32 v33, -v14, v31, 1.0
	s_delay_alu instid0(VALU_DEP_1) | instskip(SKIP_1) | instid1(VALU_DEP_2)
	v_dual_fmac_f32 v30, v32, v30 :: v_dual_fmac_f32 v31, v33, v31
	v_div_scale_f32 v32, s6, v12, s30, v12
	v_mul_f32_e32 v33, v34, v30
	s_delay_alu instid0(VALU_DEP_2) | instskip(NEXT) | instid1(VALU_DEP_2)
	v_mul_f32_e32 v35, v32, v31
	v_fma_f32 v36, -v13, v33, v34
	s_delay_alu instid0(VALU_DEP_2) | instskip(NEXT) | instid1(VALU_DEP_2)
	v_fma_f32 v37, -v14, v35, v32
	v_fmac_f32_e32 v33, v36, v30
	s_delay_alu instid0(VALU_DEP_2) | instskip(NEXT) | instid1(VALU_DEP_2)
	v_fmac_f32_e32 v35, v37, v31
	v_fma_f32 v13, -v13, v33, v34
	s_delay_alu instid0(VALU_DEP_2) | instskip(SKIP_1) | instid1(VALU_DEP_2)
	v_fma_f32 v14, -v14, v35, v32
	s_wait_alu 0xfffd
	v_div_fmas_f32 v13, v13, v30, v33
	s_mov_b32 vcc_lo, s6
	s_wait_alu 0xfffe
	v_div_fmas_f32 v14, v14, v31, v35
	s_delay_alu instid0(VALU_DEP_2) | instskip(NEXT) | instid1(VALU_DEP_2)
	v_div_fixup_f32 v13, v13, s7, v11
	v_div_fixup_f32 v14, v14, s30, v12
.LBB56_25:                              ;   in Loop: Header=BB56_4 Depth=1
	s_cbranch_execnz .LBB56_28
	s_branch .LBB56_27
.LBB56_26:                              ;   in Loop: Header=BB56_4 Depth=1
	s_and_not1_b32 vcc_lo, exec_lo, s33
	s_wait_alu 0xfffe
	s_cbranch_vccnz .LBB56_28
.LBB56_27:                              ;   in Loop: Header=BB56_4 Depth=1
	v_fma_f32 v13, v11, v24, v12
	v_fma_f32 v11, v12, v24, -v11
	s_delay_alu instid0(VALU_DEP_2) | instskip(NEXT) | instid1(VALU_DEP_2)
	v_mul_f32_e32 v13, v13, v27
	v_mul_f32_e32 v14, v11, v27
.LBB56_28:                              ;   in Loop: Header=BB56_4 Depth=1
	v_cmp_ne_u32_e32 vcc_lo, 1, v29
	s_mov_b32 s6, -1
                                        ; implicit-def: $vgpr12
	s_cbranch_vccnz .LBB56_34
; %bb.29:                               ;   in Loop: Header=BB56_4 Depth=1
	s_and_not1_b32 vcc_lo, exec_lo, s31
                                        ; implicit-def: $vgpr12
	s_wait_alu 0xfffe
	s_cbranch_vccnz .LBB56_31
; %bb.30:                               ;   in Loop: Header=BB56_4 Depth=1
	v_fma_f32 v11, v8, v25, v7
	v_fma_f32 v12, -v7, v25, v8
	s_mov_b32 s6, 0
	s_delay_alu instid0(VALU_DEP_2) | instskip(NEXT) | instid1(VALU_DEP_2)
	v_mul_f32_e32 v11, v11, v26
	v_mul_f32_e32 v12, v12, v26
.LBB56_31:                              ;   in Loop: Header=BB56_4 Depth=1
	s_wait_alu 0xfffe
	s_and_not1_b32 vcc_lo, exec_lo, s6
	s_wait_alu 0xfffe
	s_cbranch_vccnz .LBB56_33
; %bb.32:                               ;   in Loop: Header=BB56_4 Depth=1
	v_div_scale_f32 v11, null, s7, s7, v7
	v_div_scale_f32 v12, null, s30, s30, v8
	v_div_scale_f32 v34, vcc_lo, v7, s7, v7
	s_delay_alu instid0(VALU_DEP_3) | instskip(NEXT) | instid1(VALU_DEP_2)
	v_rcp_f32_e32 v30, v11
	v_rcp_f32_e32 v31, v12
	s_delay_alu instid0(TRANS32_DEP_2) | instskip(NEXT) | instid1(TRANS32_DEP_1)
	v_fma_f32 v32, -v11, v30, 1.0
	v_fma_f32 v33, -v12, v31, 1.0
	s_delay_alu instid0(VALU_DEP_1) | instskip(SKIP_1) | instid1(VALU_DEP_2)
	v_dual_fmac_f32 v30, v32, v30 :: v_dual_fmac_f32 v31, v33, v31
	v_div_scale_f32 v32, s6, v8, s30, v8
	v_mul_f32_e32 v33, v34, v30
	s_delay_alu instid0(VALU_DEP_2) | instskip(NEXT) | instid1(VALU_DEP_2)
	v_mul_f32_e32 v35, v32, v31
	v_fma_f32 v36, -v11, v33, v34
	s_delay_alu instid0(VALU_DEP_2) | instskip(NEXT) | instid1(VALU_DEP_2)
	v_fma_f32 v37, -v12, v35, v32
	v_fmac_f32_e32 v33, v36, v30
	s_delay_alu instid0(VALU_DEP_2) | instskip(NEXT) | instid1(VALU_DEP_2)
	v_fmac_f32_e32 v35, v37, v31
	v_fma_f32 v11, -v11, v33, v34
	s_delay_alu instid0(VALU_DEP_2) | instskip(SKIP_1) | instid1(VALU_DEP_2)
	v_fma_f32 v12, -v12, v35, v32
	s_wait_alu 0xfffd
	v_div_fmas_f32 v11, v11, v30, v33
	s_mov_b32 vcc_lo, s6
	s_wait_alu 0xfffe
	v_div_fmas_f32 v12, v12, v31, v35
	s_delay_alu instid0(VALU_DEP_2) | instskip(NEXT) | instid1(VALU_DEP_2)
	v_div_fixup_f32 v11, v11, s7, v7
	v_div_fixup_f32 v12, v12, s30, v8
.LBB56_33:                              ;   in Loop: Header=BB56_4 Depth=1
	s_cbranch_execnz .LBB56_36
	s_branch .LBB56_35
.LBB56_34:                              ;   in Loop: Header=BB56_4 Depth=1
	s_wait_alu 0xfffe
	s_and_not1_b32 vcc_lo, exec_lo, s6
	s_wait_alu 0xfffe
	s_cbranch_vccnz .LBB56_36
.LBB56_35:                              ;   in Loop: Header=BB56_4 Depth=1
	v_fma_f32 v11, v7, v24, v8
	v_fma_f32 v7, v8, v24, -v7
	s_delay_alu instid0(VALU_DEP_2) | instskip(NEXT) | instid1(VALU_DEP_2)
	v_mul_f32_e32 v11, v11, v27
	v_mul_f32_e32 v12, v7, v27
.LBB56_36:                              ;   in Loop: Header=BB56_4 Depth=1
	v_cmp_ne_u32_e32 vcc_lo, 1, v29
	s_mov_b32 s6, -1
                                        ; implicit-def: $vgpr8
	s_cbranch_vccnz .LBB56_46
; %bb.37:                               ;   in Loop: Header=BB56_4 Depth=1
	v_cmp_ne_u32_e32 vcc_lo, 1, v28
                                        ; implicit-def: $vgpr8
	s_cbranch_vccnz .LBB56_39
; %bb.38:                               ;   in Loop: Header=BB56_4 Depth=1
	v_fma_f32 v7, v6, v25, v5
	v_fma_f32 v8, -v5, v25, v6
	s_mov_b32 s6, 0
	s_delay_alu instid0(VALU_DEP_2) | instskip(NEXT) | instid1(VALU_DEP_2)
	v_mul_f32_e32 v7, v7, v26
	v_mul_f32_e32 v8, v8, v26
.LBB56_39:                              ;   in Loop: Header=BB56_4 Depth=1
	s_wait_alu 0xfffe
	s_and_not1_b32 vcc_lo, exec_lo, s6
	s_wait_alu 0xfffe
	s_cbranch_vccnz .LBB56_41
; %bb.40:                               ;   in Loop: Header=BB56_4 Depth=1
	v_div_scale_f32 v7, null, s7, s7, v5
	v_div_scale_f32 v8, null, s30, s30, v6
	v_div_scale_f32 v30, vcc_lo, v5, s7, v5
	s_delay_alu instid0(VALU_DEP_3) | instskip(NEXT) | instid1(VALU_DEP_2)
	v_rcp_f32_e32 v25, v7
	v_rcp_f32_e32 v26, v8
	s_delay_alu instid0(TRANS32_DEP_2) | instskip(NEXT) | instid1(TRANS32_DEP_1)
	v_fma_f32 v28, -v7, v25, 1.0
	v_fma_f32 v29, -v8, v26, 1.0
	s_delay_alu instid0(VALU_DEP_1) | instskip(SKIP_1) | instid1(VALU_DEP_2)
	v_dual_fmac_f32 v25, v28, v25 :: v_dual_fmac_f32 v26, v29, v26
	v_div_scale_f32 v28, s6, v6, s30, v6
	v_mul_f32_e32 v29, v30, v25
	s_delay_alu instid0(VALU_DEP_2) | instskip(NEXT) | instid1(VALU_DEP_2)
	v_mul_f32_e32 v31, v28, v26
	v_fma_f32 v32, -v7, v29, v30
	s_delay_alu instid0(VALU_DEP_2) | instskip(NEXT) | instid1(VALU_DEP_2)
	v_fma_f32 v33, -v8, v31, v28
	v_fmac_f32_e32 v29, v32, v25
	s_delay_alu instid0(VALU_DEP_2) | instskip(NEXT) | instid1(VALU_DEP_2)
	v_fmac_f32_e32 v31, v33, v26
	v_fma_f32 v7, -v7, v29, v30
	s_delay_alu instid0(VALU_DEP_2) | instskip(SKIP_1) | instid1(VALU_DEP_2)
	v_fma_f32 v8, -v8, v31, v28
	s_wait_alu 0xfffd
	v_div_fmas_f32 v7, v7, v25, v29
	s_mov_b32 vcc_lo, s6
	s_wait_alu 0xfffe
	v_div_fmas_f32 v8, v8, v26, v31
	s_delay_alu instid0(VALU_DEP_2) | instskip(NEXT) | instid1(VALU_DEP_2)
	v_div_fixup_f32 v7, v7, s7, v5
	v_div_fixup_f32 v8, v8, s30, v6
.LBB56_41:                              ;   in Loop: Header=BB56_4 Depth=1
	s_cbranch_execz .LBB56_47
.LBB56_42:                              ;   in Loop: Header=BB56_4 Depth=1
	s_and_saveexec_b32 s6, s2
	s_wait_alu 0xfffe
	s_xor_b32 s2, exec_lo, s6
	s_cbranch_execz .LBB56_48
.LBB56_43:                              ;   in Loop: Header=BB56_4 Depth=1
	v_add_co_u32 v5, s6, s18, v1
	s_wait_alu 0xf1ff
	v_add_co_ci_u32_e64 v6, null, s19, 0, s6
	global_store_b64 v[5:6], v[9:10], off
	s_wait_alu 0xfffe
	s_or_b32 exec_lo, exec_lo, s2
	s_and_saveexec_b32 s2, s3
	s_cbranch_execnz .LBB56_49
.LBB56_44:                              ;   in Loop: Header=BB56_4 Depth=1
	s_wait_alu 0xfffe
	s_or_b32 exec_lo, exec_lo, s2
	s_and_saveexec_b32 s2, s4
	s_cbranch_execz .LBB56_50
.LBB56_45:                              ;   in Loop: Header=BB56_4 Depth=1
	v_add_co_u32 v5, vcc_lo, s18, v21
	s_wait_alu 0xfffd
	v_add_co_ci_u32_e64 v6, null, s19, v20, vcc_lo
	global_store_b64 v[5:6], v[11:12], off offset:-4
	s_wait_alu 0xfffe
	s_or_b32 exec_lo, exec_lo, s2
	s_and_saveexec_b32 s2, s5
	s_cbranch_execz .LBB56_3
	s_branch .LBB56_51
.LBB56_46:                              ;   in Loop: Header=BB56_4 Depth=1
	s_wait_alu 0xfffe
	s_and_not1_b32 vcc_lo, exec_lo, s6
	s_wait_alu 0xfffe
	s_cbranch_vccnz .LBB56_42
.LBB56_47:                              ;   in Loop: Header=BB56_4 Depth=1
	v_fma_f32 v7, v5, v24, v6
	v_fma_f32 v5, v6, v24, -v5
	s_delay_alu instid0(VALU_DEP_2) | instskip(NEXT) | instid1(VALU_DEP_2)
	v_mul_f32_e32 v7, v7, v27
	v_mul_f32_e32 v8, v5, v27
	s_and_saveexec_b32 s6, s2
	s_wait_alu 0xfffe
	s_xor_b32 s2, exec_lo, s6
	s_cbranch_execnz .LBB56_43
.LBB56_48:                              ;   in Loop: Header=BB56_4 Depth=1
	s_wait_alu 0xfffe
	s_or_b32 exec_lo, exec_lo, s2
	s_and_saveexec_b32 s2, s3
	s_cbranch_execz .LBB56_44
.LBB56_49:                              ;   in Loop: Header=BB56_4 Depth=1
	v_add_co_u32 v5, s3, s18, v19
	s_wait_alu 0xf1ff
	v_add_co_ci_u32_e64 v6, null, s19, 0, s3
	global_store_b64 v[5:6], v[13:14], off
	s_wait_alu 0xfffe
	s_or_b32 exec_lo, exec_lo, s2
	s_and_saveexec_b32 s2, s4
	s_cbranch_execnz .LBB56_45
.LBB56_50:                              ;   in Loop: Header=BB56_4 Depth=1
	s_wait_alu 0xfffe
	s_or_b32 exec_lo, exec_lo, s2
	s_and_saveexec_b32 s2, s5
	s_cbranch_execz .LBB56_3
.LBB56_51:                              ;   in Loop: Header=BB56_4 Depth=1
	v_add_co_u32 v5, vcc_lo, s18, v3
	s_wait_alu 0xfffd
	v_add_co_ci_u32_e64 v6, null, s19, v4, vcc_lo
	global_store_b64 v[5:6], v[7:8], off offset:-4
	s_branch .LBB56_3
.LBB56_52:
	s_cbranch_execz .LBB56_54
	s_branch .LBB56_89
.LBB56_53:
.LBB56_54:
	v_cmp_gt_i64_e64 s2, 0x10000, s[16:17]
	v_dual_mov_b32 v14, 0 :: v_dual_lshlrev_b32 v13, 2, v0
	s_mov_b32 s4, 0
	s_mov_b32 s5, exec_lo
	s_and_b32 s2, s2, exec_lo
	s_cselect_b32 s3, s17, 0
	s_cselect_b32 s2, s16, 0x10000
	s_wait_alu 0xfffe
	v_cmpx_gt_i64_e64 s[2:3], v[13:14]
	s_cbranch_execz .LBB56_89
; %bb.55:
	s_load_b32 s5, s[0:1], 0xd4c
	v_dual_mov_b32 v1, v14 :: v_dual_lshlrev_b32 v2, 5, v0
	s_add_nc_u64 s[0:1], s[12:13], s[14:15]
	s_delay_alu instid0(VALU_DEP_1) | instid1(SALU_CYCLE_1)
	v_add_co_u32 v15, s0, s0, v2
	s_wait_alu 0xf1ff
	v_add_co_ci_u32_e64 v16, null, s1, 0, s0
	s_wait_kmcnt 0x0
	s_and_b32 s1, s5, 0xffff
	s_wait_alu 0xfffe
	s_lshl_b32 s5, s1, 5
	s_branch .LBB56_57
.LBB56_56:                              ;   in Loop: Header=BB56_57 Depth=1
	v_add_co_u32 v0, vcc_lo, v0, s1
	s_wait_alu 0xfffd
	v_add_co_ci_u32_e64 v1, null, 0, v1, vcc_lo
	s_wait_loadcnt 0x0
	s_clause 0x1
	global_store_b128 v[15:16], v[6:9], off
	global_store_b128 v[15:16], v[10:13], off offset:16
	v_add_co_u32 v15, s0, v15, s5
	v_lshlrev_b64_e32 v[2:3], 2, v[0:1]
	s_wait_alu 0xf1ff
	v_add_co_ci_u32_e64 v16, null, 0, v16, s0
	s_delay_alu instid0(VALU_DEP_2)
	v_cmp_le_i64_e32 vcc_lo, s[2:3], v[2:3]
	s_or_b32 s4, vcc_lo, s4
	s_wait_alu 0xfffe
	s_and_not1_b32 exec_lo, exec_lo, s4
	s_cbranch_execz .LBB56_89
.LBB56_57:                              ; =>This Inner Loop Header: Depth=1
	global_load_b64 v[6:7], v14, s[8:9]
	s_clause 0x1
	global_load_b128 v[2:5], v[15:16], off offset:16
	global_load_b128 v[8:11], v[15:16], off
	s_wait_loadcnt 0x2
	v_readfirstlane_b32 s0, v7
	v_readfirstlane_b32 s6, v6
	s_mul_f32 s7, s0, s11
	s_mul_f32 s12, s0, s10
	s_wait_alu 0xfffe
	s_delay_alu instid0(SALU_CYCLE_1) | instskip(NEXT) | instid1(SALU_CYCLE_1)
	s_xor_b32 s14, s7, 0x80000000
	s_fmac_f32 s12, s6, s11
	s_wait_alu 0xfffe
	s_fmac_f32 s14, s6, s10
	s_wait_alu 0xfffe
	s_delay_alu instid0(SALU_CYCLE_2) | instskip(SKIP_2) | instid1(VALU_DEP_3)
	v_div_scale_f32 v6, null, s14, s14, s12
	v_div_scale_f32 v12, null, s12, s12, s14
	v_div_scale_f32 v18, vcc_lo, s12, s14, s12
	v_rcp_f32_e32 v7, v6
	v_xor_b32_e32 v6, 0x80000000, v6
	s_delay_alu instid0(VALU_DEP_3)
	v_rcp_f32_e32 v13, v12
	v_xor_b32_e32 v12, 0x80000000, v12
	v_div_scale_f32 v20, s0, s14, s12, s14
	s_delay_alu instid0(TRANS32_DEP_2) | instid1(VALU_DEP_3)
	v_fma_f32 v17, v6, v7, 1.0
	s_delay_alu instid0(VALU_DEP_1)
	v_fmac_f32_e32 v7, v17, v7
	s_delay_alu instid0(TRANS32_DEP_1) | instid1(VALU_DEP_4)
	v_fma_f32 v17, v12, v13, 1.0
	s_delay_alu instid0(VALU_DEP_2) | instskip(NEXT) | instid1(VALU_DEP_2)
	v_mul_f32_e32 v19, v18, v7
	v_fmac_f32_e32 v13, v17, v13
	s_delay_alu instid0(VALU_DEP_2) | instskip(NEXT) | instid1(VALU_DEP_1)
	v_fma_f32 v17, v6, v19, v18
	v_fmac_f32_e32 v19, v17, v7
	s_delay_alu instid0(VALU_DEP_1) | instskip(NEXT) | instid1(VALU_DEP_1)
	v_dual_fmac_f32 v18, v6, v19 :: v_dual_mul_f32 v21, v20, v13
	v_fma_f32 v17, v12, v21, v20
	s_delay_alu instid0(VALU_DEP_1) | instskip(NEXT) | instid1(VALU_DEP_1)
	v_fmac_f32_e32 v21, v17, v13
	v_fmac_f32_e32 v20, v12, v21
	s_wait_alu 0xfffd
	v_div_fmas_f32 v6, v18, v7, v19
	s_mov_b32 vcc_lo, s0
	s_xor_b32 s0, s14, 0x80000000
	s_cmp_lt_f32 s14, 0
	s_delay_alu instid0(VALU_DEP_1)
	v_div_fixup_f32 v12, v6, s14, s12
	s_wait_alu 0xfffe
	v_div_fmas_f32 v6, v20, v13, v21
	s_cselect_b32 s6, s0, s14
	s_xor_b32 s0, s12, 0x80000000
	s_cmp_lt_f32 s12, 0
	v_fma_f32 v7, s12, v12, s14
	v_div_fixup_f32 v17, v6, s12, s14
	s_wait_alu 0xfffe
	s_cselect_b32 s7, s0, s12
	s_delay_alu instid0(VALU_DEP_2) | instskip(NEXT) | instid1(VALU_DEP_2)
	v_div_scale_f32 v6, null, v7, v7, 1.0
	v_fma_f32 v18, s14, v17, s12
	v_div_scale_f32 v22, vcc_lo, 1.0, v7, 1.0
	s_delay_alu instid0(VALU_DEP_3) | instskip(SKIP_1) | instid1(VALU_DEP_3)
	v_rcp_f32_e32 v13, v6
	v_xor_b32_e32 v6, 0x80000000, v6
	v_div_scale_f32 v19, null, v18, v18, 1.0
	v_div_scale_f32 v23, s0, 1.0, v18, 1.0
	s_wait_alu 0xfffe
	s_cmp_ge_f32 s6, s7
	s_delay_alu instid0(VALU_DEP_2) | instskip(SKIP_1) | instid1(TRANS32_DEP_2)
	v_rcp_f32_e32 v20, v19
	v_xor_b32_e32 v19, 0x80000000, v19
	v_fma_f32 v21, v6, v13, 1.0
	s_cselect_b32 s13, -1, 0
	s_cmp_neq_f32 s14, 0
	s_delay_alu instid0(VALU_DEP_1) | instskip(SKIP_1) | instid1(TRANS32_DEP_1)
	v_fmac_f32_e32 v13, v21, v13
	s_cselect_b32 s14, -1, 0
	v_fma_f32 v21, v19, v20, 1.0
	s_cmp_neq_f32 s12, 0
	s_delay_alu instid0(VALU_DEP_2) | instskip(NEXT) | instid1(VALU_DEP_2)
	v_mul_f32_e32 v24, v22, v13
	v_fmac_f32_e32 v20, v21, v20
	s_cselect_b32 s12, -1, 0
	s_delay_alu instid0(VALU_DEP_2)
	v_fma_f32 v21, v6, v24, v22
	s_wait_alu 0xfffe
	s_or_b32 s12, s14, s12
	v_mul_f32_e32 v25, v23, v20
	s_cmp_nge_f32 s6, s7
	v_fmac_f32_e32 v24, v21, v13
	s_delay_alu instid0(VALU_DEP_2) | instskip(NEXT) | instid1(VALU_DEP_2)
	v_fma_f32 v21, v19, v25, v23
	v_fmac_f32_e32 v22, v6, v24
	s_delay_alu instid0(VALU_DEP_2) | instskip(SKIP_1) | instid1(VALU_DEP_2)
	v_fmac_f32_e32 v25, v21, v20
	s_wait_alu 0xfffd
	v_div_fmas_f32 v6, v22, v13, v24
	s_mov_b32 vcc_lo, s0
	s_delay_alu instid0(VALU_DEP_2) | instskip(SKIP_1) | instid1(VALU_DEP_2)
	v_fmac_f32_e32 v23, v19, v25
	s_mov_b32 s0, -1
	v_div_fixup_f32 v13, v6, v7, 1.0
                                        ; implicit-def: $vgpr7
	s_wait_alu 0xfffe
	s_delay_alu instid0(VALU_DEP_2)
	v_div_fmas_f32 v19, v23, v20, v25
	s_cbranch_scc1 .LBB56_69
; %bb.58:                               ;   in Loop: Header=BB56_57 Depth=1
	s_and_b32 vcc_lo, exec_lo, s12
                                        ; implicit-def: $vgpr7
	s_wait_alu 0xfffe
	s_cbranch_vccz .LBB56_60
; %bb.59:                               ;   in Loop: Header=BB56_57 Depth=1
	s_wait_loadcnt 0x0
	v_fma_f32 v6, v9, v12, v8
	v_fma_f32 v7, -v8, v12, v9
	s_mov_b32 s0, 0
	s_delay_alu instid0(VALU_DEP_2) | instskip(NEXT) | instid1(VALU_DEP_2)
	v_mul_f32_e32 v6, v6, v13
	v_mul_f32_e32 v7, v7, v13
.LBB56_60:                              ;   in Loop: Header=BB56_57 Depth=1
	s_wait_alu 0xfffe
	s_and_not1_b32 vcc_lo, exec_lo, s0
	s_wait_alu 0xfffe
	s_cbranch_vccnz .LBB56_62
; %bb.61:                               ;   in Loop: Header=BB56_57 Depth=1
	s_wait_loadcnt 0x0
	v_div_scale_f32 v6, null, s6, s6, v8
	v_div_scale_f32 v7, null, s7, s7, v9
	v_div_scale_f32 v24, vcc_lo, v8, s6, v8
	s_delay_alu instid0(VALU_DEP_3) | instskip(NEXT) | instid1(VALU_DEP_2)
	v_rcp_f32_e32 v20, v6
	v_rcp_f32_e32 v21, v7
	s_delay_alu instid0(TRANS32_DEP_2) | instskip(NEXT) | instid1(TRANS32_DEP_1)
	v_fma_f32 v22, -v6, v20, 1.0
	v_fma_f32 v23, -v7, v21, 1.0
	s_delay_alu instid0(VALU_DEP_1) | instskip(SKIP_1) | instid1(VALU_DEP_2)
	v_dual_fmac_f32 v20, v22, v20 :: v_dual_fmac_f32 v21, v23, v21
	v_div_scale_f32 v22, s0, v9, s7, v9
	v_mul_f32_e32 v23, v24, v20
	s_delay_alu instid0(VALU_DEP_2) | instskip(NEXT) | instid1(VALU_DEP_2)
	v_mul_f32_e32 v25, v22, v21
	v_fma_f32 v26, -v6, v23, v24
	s_delay_alu instid0(VALU_DEP_2) | instskip(NEXT) | instid1(VALU_DEP_2)
	v_fma_f32 v27, -v7, v25, v22
	v_fmac_f32_e32 v23, v26, v20
	s_delay_alu instid0(VALU_DEP_2) | instskip(NEXT) | instid1(VALU_DEP_2)
	v_fmac_f32_e32 v25, v27, v21
	v_fma_f32 v6, -v6, v23, v24
	s_delay_alu instid0(VALU_DEP_2) | instskip(SKIP_1) | instid1(VALU_DEP_2)
	v_fma_f32 v7, -v7, v25, v22
	s_wait_alu 0xfffd
	v_div_fmas_f32 v6, v6, v20, v23
	s_mov_b32 vcc_lo, s0
	s_wait_alu 0xfffe
	v_div_fmas_f32 v7, v7, v21, v25
	s_delay_alu instid0(VALU_DEP_2) | instskip(NEXT) | instid1(VALU_DEP_2)
	v_div_fixup_f32 v6, v6, s6, v8
	v_div_fixup_f32 v7, v7, s7, v9
.LBB56_62:                              ;   in Loop: Header=BB56_57 Depth=1
	v_div_fixup_f32 v18, v19, v18, 1.0
	s_cbranch_execz .LBB56_70
.LBB56_63:                              ;   in Loop: Header=BB56_57 Depth=1
	v_cndmask_b32_e64 v19, 0, 1, s13
	s_and_not1_b32 vcc_lo, exec_lo, s13
	s_mov_b32 s0, -1
	s_wait_alu 0xfffe
	s_cbranch_vccnz .LBB56_71
.LBB56_64:                              ;   in Loop: Header=BB56_57 Depth=1
	s_and_not1_b32 vcc_lo, exec_lo, s12
	s_wait_alu 0xfffe
	s_cbranch_vccnz .LBB56_66
; %bb.65:                               ;   in Loop: Header=BB56_57 Depth=1
	s_wait_loadcnt 0x0
	v_fma_f32 v8, v11, v12, v10
	v_fma_f32 v9, -v10, v12, v11
	s_mov_b32 s0, 0
	s_delay_alu instid0(VALU_DEP_2) | instskip(NEXT) | instid1(VALU_DEP_2)
	v_mul_f32_e32 v8, v8, v13
	v_mul_f32_e32 v9, v9, v13
.LBB56_66:                              ;   in Loop: Header=BB56_57 Depth=1
	s_wait_alu 0xfffe
	s_and_not1_b32 vcc_lo, exec_lo, s0
	s_wait_alu 0xfffe
	s_cbranch_vccnz .LBB56_68
; %bb.67:                               ;   in Loop: Header=BB56_57 Depth=1
	s_wait_loadcnt 0x0
	v_div_scale_f32 v8, null, s6, s6, v10
	v_div_scale_f32 v9, null, s7, s7, v11
	v_div_scale_f32 v24, vcc_lo, v10, s6, v10
	s_delay_alu instid0(VALU_DEP_3) | instskip(NEXT) | instid1(VALU_DEP_2)
	v_rcp_f32_e32 v20, v8
	v_rcp_f32_e32 v21, v9
	s_delay_alu instid0(TRANS32_DEP_2) | instskip(NEXT) | instid1(TRANS32_DEP_1)
	v_fma_f32 v22, -v8, v20, 1.0
	v_fma_f32 v23, -v9, v21, 1.0
	s_delay_alu instid0(VALU_DEP_1) | instskip(SKIP_1) | instid1(VALU_DEP_2)
	v_dual_fmac_f32 v20, v22, v20 :: v_dual_fmac_f32 v21, v23, v21
	v_div_scale_f32 v22, s0, v11, s7, v11
	v_mul_f32_e32 v23, v24, v20
	s_delay_alu instid0(VALU_DEP_2) | instskip(NEXT) | instid1(VALU_DEP_2)
	v_mul_f32_e32 v25, v22, v21
	v_fma_f32 v26, -v8, v23, v24
	s_delay_alu instid0(VALU_DEP_2) | instskip(NEXT) | instid1(VALU_DEP_2)
	v_fma_f32 v27, -v9, v25, v22
	v_fmac_f32_e32 v23, v26, v20
	s_delay_alu instid0(VALU_DEP_2) | instskip(NEXT) | instid1(VALU_DEP_2)
	v_fmac_f32_e32 v25, v27, v21
	v_fma_f32 v8, -v8, v23, v24
	s_delay_alu instid0(VALU_DEP_2) | instskip(SKIP_1) | instid1(VALU_DEP_2)
	v_fma_f32 v9, -v9, v25, v22
	s_wait_alu 0xfffd
	v_div_fmas_f32 v8, v8, v20, v23
	s_mov_b32 vcc_lo, s0
	s_wait_alu 0xfffe
	v_div_fmas_f32 v9, v9, v21, v25
	s_delay_alu instid0(VALU_DEP_2) | instskip(NEXT) | instid1(VALU_DEP_2)
	v_div_fixup_f32 v8, v8, s6, v10
	v_div_fixup_f32 v9, v9, s7, v11
.LBB56_68:                              ;   in Loop: Header=BB56_57 Depth=1
	s_cbranch_execnz .LBB56_73
	s_branch .LBB56_72
.LBB56_69:                              ;   in Loop: Header=BB56_57 Depth=1
	s_delay_alu instid0(VALU_DEP_1)
	v_div_fixup_f32 v18, v19, v18, 1.0
	s_and_not1_b32 vcc_lo, exec_lo, s0
	s_wait_alu 0xfffe
	s_cbranch_vccnz .LBB56_63
.LBB56_70:                              ;   in Loop: Header=BB56_57 Depth=1
	s_wait_loadcnt 0x0
	v_fma_f32 v6, v8, v17, v9
	v_fma_f32 v7, v9, v17, -v8
	s_delay_alu instid0(VALU_DEP_2) | instskip(NEXT) | instid1(VALU_DEP_2)
	v_mul_f32_e32 v6, v6, v18
	v_mul_f32_e32 v7, v7, v18
	v_cndmask_b32_e64 v19, 0, 1, s13
	s_and_not1_b32 vcc_lo, exec_lo, s13
	s_mov_b32 s0, -1
	s_wait_alu 0xfffe
	s_cbranch_vccz .LBB56_64
.LBB56_71:                              ;   in Loop: Header=BB56_57 Depth=1
	s_and_not1_b32 vcc_lo, exec_lo, s0
	s_wait_alu 0xfffe
	s_cbranch_vccnz .LBB56_73
.LBB56_72:                              ;   in Loop: Header=BB56_57 Depth=1
	s_wait_loadcnt 0x0
	v_fma_f32 v8, v10, v17, v11
	v_fma_f32 v9, v11, v17, -v10
	s_delay_alu instid0(VALU_DEP_2) | instskip(NEXT) | instid1(VALU_DEP_2)
	v_mul_f32_e32 v8, v8, v18
	v_mul_f32_e32 v9, v9, v18
.LBB56_73:                              ;   in Loop: Header=BB56_57 Depth=1
	v_cmp_ne_u32_e32 vcc_lo, 1, v19
	s_mov_b32 s0, -1
                                        ; implicit-def: $vgpr11
	s_cbranch_vccnz .LBB56_85
; %bb.74:                               ;   in Loop: Header=BB56_57 Depth=1
	s_and_not1_b32 vcc_lo, exec_lo, s12
                                        ; implicit-def: $vgpr11
	s_wait_alu 0xfffe
	s_cbranch_vccnz .LBB56_76
; %bb.75:                               ;   in Loop: Header=BB56_57 Depth=1
	s_wait_loadcnt 0x0
	v_fma_f32 v10, v3, v12, v2
	v_fma_f32 v11, -v2, v12, v3
	s_mov_b32 s0, 0
	s_delay_alu instid0(VALU_DEP_2) | instskip(NEXT) | instid1(VALU_DEP_2)
	v_mul_f32_e32 v10, v10, v13
	v_mul_f32_e32 v11, v11, v13
.LBB56_76:                              ;   in Loop: Header=BB56_57 Depth=1
	s_wait_alu 0xfffe
	s_and_not1_b32 vcc_lo, exec_lo, s0
	s_wait_alu 0xfffe
	s_cbranch_vccnz .LBB56_78
; %bb.77:                               ;   in Loop: Header=BB56_57 Depth=1
	s_wait_loadcnt 0x0
	v_div_scale_f32 v10, null, s6, s6, v2
	v_div_scale_f32 v11, null, s7, s7, v3
	v_div_scale_f32 v24, vcc_lo, v2, s6, v2
	s_delay_alu instid0(VALU_DEP_3) | instskip(NEXT) | instid1(VALU_DEP_2)
	v_rcp_f32_e32 v20, v10
	v_rcp_f32_e32 v21, v11
	s_delay_alu instid0(TRANS32_DEP_2) | instskip(NEXT) | instid1(TRANS32_DEP_1)
	v_fma_f32 v22, -v10, v20, 1.0
	v_fma_f32 v23, -v11, v21, 1.0
	s_delay_alu instid0(VALU_DEP_1) | instskip(SKIP_1) | instid1(VALU_DEP_2)
	v_dual_fmac_f32 v20, v22, v20 :: v_dual_fmac_f32 v21, v23, v21
	v_div_scale_f32 v22, s0, v3, s7, v3
	v_mul_f32_e32 v23, v24, v20
	s_delay_alu instid0(VALU_DEP_2) | instskip(NEXT) | instid1(VALU_DEP_2)
	v_mul_f32_e32 v25, v22, v21
	v_fma_f32 v26, -v10, v23, v24
	s_delay_alu instid0(VALU_DEP_2) | instskip(NEXT) | instid1(VALU_DEP_2)
	v_fma_f32 v27, -v11, v25, v22
	v_fmac_f32_e32 v23, v26, v20
	s_delay_alu instid0(VALU_DEP_2) | instskip(NEXT) | instid1(VALU_DEP_2)
	v_fmac_f32_e32 v25, v27, v21
	v_fma_f32 v10, -v10, v23, v24
	s_delay_alu instid0(VALU_DEP_2) | instskip(SKIP_1) | instid1(VALU_DEP_2)
	v_fma_f32 v11, -v11, v25, v22
	s_wait_alu 0xfffd
	v_div_fmas_f32 v10, v10, v20, v23
	s_mov_b32 vcc_lo, s0
	s_wait_alu 0xfffe
	v_div_fmas_f32 v11, v11, v21, v25
	s_delay_alu instid0(VALU_DEP_2) | instskip(NEXT) | instid1(VALU_DEP_2)
	v_div_fixup_f32 v10, v10, s6, v2
	v_div_fixup_f32 v11, v11, s7, v3
.LBB56_78:                              ;   in Loop: Header=BB56_57 Depth=1
	s_cbranch_execz .LBB56_86
.LBB56_79:                              ;   in Loop: Header=BB56_57 Depth=1
	v_cmp_ne_u32_e32 vcc_lo, 1, v19
	s_mov_b32 s0, -1
	s_cbranch_vccnz .LBB56_87
.LBB56_80:                              ;   in Loop: Header=BB56_57 Depth=1
	s_and_not1_b32 vcc_lo, exec_lo, s12
	s_wait_alu 0xfffe
	s_cbranch_vccnz .LBB56_82
; %bb.81:                               ;   in Loop: Header=BB56_57 Depth=1
	s_wait_loadcnt 0x1
	v_fma_f32 v2, v5, v12, v4
	v_fma_f32 v3, -v4, v12, v5
	s_mov_b32 s0, 0
	s_delay_alu instid0(VALU_DEP_2) | instskip(NEXT) | instid1(VALU_DEP_2)
	v_mul_f32_e32 v12, v2, v13
	v_mul_f32_e32 v13, v3, v13
.LBB56_82:                              ;   in Loop: Header=BB56_57 Depth=1
	s_wait_alu 0xfffe
	s_and_not1_b32 vcc_lo, exec_lo, s0
	s_wait_alu 0xfffe
	s_cbranch_vccnz .LBB56_84
; %bb.83:                               ;   in Loop: Header=BB56_57 Depth=1
	s_wait_loadcnt 0x1
	v_div_scale_f32 v2, null, s6, s6, v4
	v_div_scale_f32 v3, null, s7, s7, v5
	v_div_scale_f32 v21, vcc_lo, v4, s6, v4
	s_delay_alu instid0(VALU_DEP_3) | instskip(NEXT) | instid1(VALU_DEP_2)
	v_rcp_f32_e32 v12, v2
	v_rcp_f32_e32 v13, v3
	s_delay_alu instid0(TRANS32_DEP_2) | instskip(NEXT) | instid1(TRANS32_DEP_1)
	v_fma_f32 v19, -v2, v12, 1.0
	v_fma_f32 v20, -v3, v13, 1.0
	s_delay_alu instid0(VALU_DEP_1) | instskip(SKIP_1) | instid1(VALU_DEP_2)
	v_dual_fmac_f32 v12, v19, v12 :: v_dual_fmac_f32 v13, v20, v13
	v_div_scale_f32 v19, s0, v5, s7, v5
	v_mul_f32_e32 v20, v21, v12
	s_delay_alu instid0(VALU_DEP_2) | instskip(NEXT) | instid1(VALU_DEP_2)
	v_mul_f32_e32 v22, v19, v13
	v_fma_f32 v23, -v2, v20, v21
	s_delay_alu instid0(VALU_DEP_2) | instskip(NEXT) | instid1(VALU_DEP_2)
	v_fma_f32 v24, -v3, v22, v19
	v_fmac_f32_e32 v20, v23, v12
	s_delay_alu instid0(VALU_DEP_2) | instskip(NEXT) | instid1(VALU_DEP_2)
	v_fmac_f32_e32 v22, v24, v13
	v_fma_f32 v2, -v2, v20, v21
	s_delay_alu instid0(VALU_DEP_2) | instskip(SKIP_1) | instid1(VALU_DEP_2)
	v_fma_f32 v3, -v3, v22, v19
	s_wait_alu 0xfffd
	v_div_fmas_f32 v2, v2, v12, v20
	s_mov_b32 vcc_lo, s0
	s_wait_alu 0xfffe
	v_div_fmas_f32 v3, v3, v13, v22
	s_delay_alu instid0(VALU_DEP_2) | instskip(NEXT) | instid1(VALU_DEP_2)
	v_div_fixup_f32 v12, v2, s6, v4
	v_div_fixup_f32 v13, v3, s7, v5
.LBB56_84:                              ;   in Loop: Header=BB56_57 Depth=1
	s_cbranch_execnz .LBB56_56
	s_branch .LBB56_88
.LBB56_85:                              ;   in Loop: Header=BB56_57 Depth=1
	s_wait_alu 0xfffe
	s_and_not1_b32 vcc_lo, exec_lo, s0
	s_wait_alu 0xfffe
	s_cbranch_vccnz .LBB56_79
.LBB56_86:                              ;   in Loop: Header=BB56_57 Depth=1
	s_wait_loadcnt 0x0
	v_fma_f32 v10, v2, v17, v3
	v_fma_f32 v2, v3, v17, -v2
	s_delay_alu instid0(VALU_DEP_2) | instskip(NEXT) | instid1(VALU_DEP_2)
	v_mul_f32_e32 v10, v10, v18
	v_mul_f32_e32 v11, v2, v18
	v_cmp_ne_u32_e32 vcc_lo, 1, v19
	s_mov_b32 s0, -1
	s_cbranch_vccz .LBB56_80
.LBB56_87:                              ;   in Loop: Header=BB56_57 Depth=1
	s_wait_alu 0xfffe
	s_and_not1_b32 vcc_lo, exec_lo, s0
	s_wait_alu 0xfffe
	s_cbranch_vccnz .LBB56_56
.LBB56_88:                              ;   in Loop: Header=BB56_57 Depth=1
	s_wait_loadcnt 0x1
	v_fma_f32 v2, v4, v17, v5
	v_fma_f32 v3, v5, v17, -v4
	s_delay_alu instid0(VALU_DEP_2) | instskip(NEXT) | instid1(VALU_DEP_2)
	v_mul_f32_e32 v12, v2, v18
	v_mul_f32_e32 v13, v3, v18
	s_branch .LBB56_56
.LBB56_89:
	s_endpgm
	.section	.rodata,"a",@progbits
	.p2align	6, 0x0
	.amdhsa_kernel _ZN2at6native12_GLOBAL__N_125multi_tensor_apply_kernelINS1_18TensorListMetadataILi1EEENS1_27BinaryOpScalarTensorFunctorIN3c107complexIfEELi1ELi1ELi0EEEJSt7dividesIS8_EPS8_S8_EEEvT_T0_DpT1_
		.amdhsa_group_segment_fixed_size 0
		.amdhsa_private_segment_fixed_size 0
		.amdhsa_kernarg_size 3648
		.amdhsa_user_sgpr_count 2
		.amdhsa_user_sgpr_dispatch_ptr 0
		.amdhsa_user_sgpr_queue_ptr 0
		.amdhsa_user_sgpr_kernarg_segment_ptr 1
		.amdhsa_user_sgpr_dispatch_id 0
		.amdhsa_user_sgpr_private_segment_size 0
		.amdhsa_wavefront_size32 1
		.amdhsa_uses_dynamic_stack 0
		.amdhsa_enable_private_segment 0
		.amdhsa_system_sgpr_workgroup_id_x 1
		.amdhsa_system_sgpr_workgroup_id_y 0
		.amdhsa_system_sgpr_workgroup_id_z 0
		.amdhsa_system_sgpr_workgroup_info 0
		.amdhsa_system_vgpr_workitem_id 0
		.amdhsa_next_free_vgpr 38
		.amdhsa_next_free_sgpr 35
		.amdhsa_reserve_vcc 1
		.amdhsa_float_round_mode_32 0
		.amdhsa_float_round_mode_16_64 0
		.amdhsa_float_denorm_mode_32 3
		.amdhsa_float_denorm_mode_16_64 3
		.amdhsa_fp16_overflow 0
		.amdhsa_workgroup_processor_mode 1
		.amdhsa_memory_ordered 1
		.amdhsa_forward_progress 1
		.amdhsa_inst_pref_size 40
		.amdhsa_round_robin_scheduling 0
		.amdhsa_exception_fp_ieee_invalid_op 0
		.amdhsa_exception_fp_denorm_src 0
		.amdhsa_exception_fp_ieee_div_zero 0
		.amdhsa_exception_fp_ieee_overflow 0
		.amdhsa_exception_fp_ieee_underflow 0
		.amdhsa_exception_fp_ieee_inexact 0
		.amdhsa_exception_int_div_zero 0
	.end_amdhsa_kernel
	.section	.text._ZN2at6native12_GLOBAL__N_125multi_tensor_apply_kernelINS1_18TensorListMetadataILi1EEENS1_27BinaryOpScalarTensorFunctorIN3c107complexIfEELi1ELi1ELi0EEEJSt7dividesIS8_EPS8_S8_EEEvT_T0_DpT1_,"axG",@progbits,_ZN2at6native12_GLOBAL__N_125multi_tensor_apply_kernelINS1_18TensorListMetadataILi1EEENS1_27BinaryOpScalarTensorFunctorIN3c107complexIfEELi1ELi1ELi0EEEJSt7dividesIS8_EPS8_S8_EEEvT_T0_DpT1_,comdat
.Lfunc_end56:
	.size	_ZN2at6native12_GLOBAL__N_125multi_tensor_apply_kernelINS1_18TensorListMetadataILi1EEENS1_27BinaryOpScalarTensorFunctorIN3c107complexIfEELi1ELi1ELi0EEEJSt7dividesIS8_EPS8_S8_EEEvT_T0_DpT1_, .Lfunc_end56-_ZN2at6native12_GLOBAL__N_125multi_tensor_apply_kernelINS1_18TensorListMetadataILi1EEENS1_27BinaryOpScalarTensorFunctorIN3c107complexIfEELi1ELi1ELi0EEEJSt7dividesIS8_EPS8_S8_EEEvT_T0_DpT1_
                                        ; -- End function
	.set _ZN2at6native12_GLOBAL__N_125multi_tensor_apply_kernelINS1_18TensorListMetadataILi1EEENS1_27BinaryOpScalarTensorFunctorIN3c107complexIfEELi1ELi1ELi0EEEJSt7dividesIS8_EPS8_S8_EEEvT_T0_DpT1_.num_vgpr, 38
	.set _ZN2at6native12_GLOBAL__N_125multi_tensor_apply_kernelINS1_18TensorListMetadataILi1EEENS1_27BinaryOpScalarTensorFunctorIN3c107complexIfEELi1ELi1ELi0EEEJSt7dividesIS8_EPS8_S8_EEEvT_T0_DpT1_.num_agpr, 0
	.set _ZN2at6native12_GLOBAL__N_125multi_tensor_apply_kernelINS1_18TensorListMetadataILi1EEENS1_27BinaryOpScalarTensorFunctorIN3c107complexIfEELi1ELi1ELi0EEEJSt7dividesIS8_EPS8_S8_EEEvT_T0_DpT1_.numbered_sgpr, 35
	.set _ZN2at6native12_GLOBAL__N_125multi_tensor_apply_kernelINS1_18TensorListMetadataILi1EEENS1_27BinaryOpScalarTensorFunctorIN3c107complexIfEELi1ELi1ELi0EEEJSt7dividesIS8_EPS8_S8_EEEvT_T0_DpT1_.num_named_barrier, 0
	.set _ZN2at6native12_GLOBAL__N_125multi_tensor_apply_kernelINS1_18TensorListMetadataILi1EEENS1_27BinaryOpScalarTensorFunctorIN3c107complexIfEELi1ELi1ELi0EEEJSt7dividesIS8_EPS8_S8_EEEvT_T0_DpT1_.private_seg_size, 0
	.set _ZN2at6native12_GLOBAL__N_125multi_tensor_apply_kernelINS1_18TensorListMetadataILi1EEENS1_27BinaryOpScalarTensorFunctorIN3c107complexIfEELi1ELi1ELi0EEEJSt7dividesIS8_EPS8_S8_EEEvT_T0_DpT1_.uses_vcc, 1
	.set _ZN2at6native12_GLOBAL__N_125multi_tensor_apply_kernelINS1_18TensorListMetadataILi1EEENS1_27BinaryOpScalarTensorFunctorIN3c107complexIfEELi1ELi1ELi0EEEJSt7dividesIS8_EPS8_S8_EEEvT_T0_DpT1_.uses_flat_scratch, 0
	.set _ZN2at6native12_GLOBAL__N_125multi_tensor_apply_kernelINS1_18TensorListMetadataILi1EEENS1_27BinaryOpScalarTensorFunctorIN3c107complexIfEELi1ELi1ELi0EEEJSt7dividesIS8_EPS8_S8_EEEvT_T0_DpT1_.has_dyn_sized_stack, 0
	.set _ZN2at6native12_GLOBAL__N_125multi_tensor_apply_kernelINS1_18TensorListMetadataILi1EEENS1_27BinaryOpScalarTensorFunctorIN3c107complexIfEELi1ELi1ELi0EEEJSt7dividesIS8_EPS8_S8_EEEvT_T0_DpT1_.has_recursion, 0
	.set _ZN2at6native12_GLOBAL__N_125multi_tensor_apply_kernelINS1_18TensorListMetadataILi1EEENS1_27BinaryOpScalarTensorFunctorIN3c107complexIfEELi1ELi1ELi0EEEJSt7dividesIS8_EPS8_S8_EEEvT_T0_DpT1_.has_indirect_call, 0
	.section	.AMDGPU.csdata,"",@progbits
; Kernel info:
; codeLenInByte = 5028
; TotalNumSgprs: 37
; NumVgprs: 38
; ScratchSize: 0
; MemoryBound: 0
; FloatMode: 240
; IeeeMode: 1
; LDSByteSize: 0 bytes/workgroup (compile time only)
; SGPRBlocks: 0
; VGPRBlocks: 4
; NumSGPRsForWavesPerEU: 37
; NumVGPRsForWavesPerEU: 38
; Occupancy: 16
; WaveLimiterHint : 0
; COMPUTE_PGM_RSRC2:SCRATCH_EN: 0
; COMPUTE_PGM_RSRC2:USER_SGPR: 2
; COMPUTE_PGM_RSRC2:TRAP_HANDLER: 0
; COMPUTE_PGM_RSRC2:TGID_X_EN: 1
; COMPUTE_PGM_RSRC2:TGID_Y_EN: 0
; COMPUTE_PGM_RSRC2:TGID_Z_EN: 0
; COMPUTE_PGM_RSRC2:TIDIG_COMP_CNT: 0
	.section	.text._ZN2at6native12_GLOBAL__N_125multi_tensor_apply_kernelINS1_18TensorListMetadataILi1EEENS1_27BinaryOpScalarTensorFunctorIbLi1ELi1ELi0EEEJSt7dividesIbEPbbEEEvT_T0_DpT1_,"axG",@progbits,_ZN2at6native12_GLOBAL__N_125multi_tensor_apply_kernelINS1_18TensorListMetadataILi1EEENS1_27BinaryOpScalarTensorFunctorIbLi1ELi1ELi0EEEJSt7dividesIbEPbbEEEvT_T0_DpT1_,comdat
	.globl	_ZN2at6native12_GLOBAL__N_125multi_tensor_apply_kernelINS1_18TensorListMetadataILi1EEENS1_27BinaryOpScalarTensorFunctorIbLi1ELi1ELi0EEEJSt7dividesIbEPbbEEEvT_T0_DpT1_ ; -- Begin function _ZN2at6native12_GLOBAL__N_125multi_tensor_apply_kernelINS1_18TensorListMetadataILi1EEENS1_27BinaryOpScalarTensorFunctorIbLi1ELi1ELi0EEEJSt7dividesIbEPbbEEEvT_T0_DpT1_
	.p2align	8
	.type	_ZN2at6native12_GLOBAL__N_125multi_tensor_apply_kernelINS1_18TensorListMetadataILi1EEENS1_27BinaryOpScalarTensorFunctorIbLi1ELi1ELi0EEEJSt7dividesIbEPbbEEEvT_T0_DpT1_,@function
_ZN2at6native12_GLOBAL__N_125multi_tensor_apply_kernelINS1_18TensorListMetadataILi1EEENS1_27BinaryOpScalarTensorFunctorIbLi1ELi1ELi0EEEJSt7dividesIbEPbbEEEvT_T0_DpT1_: ; @_ZN2at6native12_GLOBAL__N_125multi_tensor_apply_kernelINS1_18TensorListMetadataILi1EEENS1_27BinaryOpScalarTensorFunctorIbLi1ELi1ELi0EEEJSt7dividesIbEPbbEEEvT_T0_DpT1_
; %bb.0:
	s_load_u8 s6, s[0:1], ttmp9 offset:0x6e0
	s_mov_b32 s2, ttmp9
	s_mov_b32 s3, 0
	s_delay_alu instid0(SALU_CYCLE_1) | instskip(SKIP_1) | instid1(SALU_CYCLE_1)
	s_mul_u64 s[4:5], s[2:3], 3
	s_add_nc_u64 s[2:3], s[0:1], s[2:3]
	s_add_nc_u64 s[2:3], s[2:3], s[4:5]
	s_wait_kmcnt 0x0
	s_lshl_b32 s6, s6, 3
	s_clause 0x2
	s_load_b64 s[4:5], s[0:1], s6 offset:0x370
	s_load_b64 s[6:7], s[0:1], s6 offset:0x0
	s_load_b32 s2, s[2:3], 0x820
	s_wait_kmcnt 0x0
	s_or_b32 s8, s4, s6
	s_ashr_i32 s3, s2, 31
	s_and_b32 s10, s8, 3
	s_lshl_b64 s[8:9], s[2:3], 16
	s_cmp_eq_u32 s10, 0
	s_sub_nc_u64 s[10:11], s[4:5], s[8:9]
	s_cbranch_scc1 .LBB57_21
; %bb.1:
	v_cmp_lt_i64_e64 s2, s[10:11], 1
	s_and_b32 vcc_lo, exec_lo, s2
	s_cbranch_vccnz .LBB57_20
; %bb.2:
	s_load_b32 s2, s[0:1], 0xd4c
	v_cmp_gt_i64_e64 s4, 0x10000, s[10:11]
	s_mov_b32 s17, 0
	v_cmp_gt_u64_e64 s14, 0x10000, s[10:11]
	s_mov_b32 s5, s17
	v_add_co_u32 v11, s3, s8, v0
	s_and_b32 s4, s4, exec_lo
	s_cselect_b32 s13, s11, 0
	s_cselect_b32 s12, s10, 0x10000
	v_add_co_ci_u32_e64 v12, null, s9, 0, s3
	s_mov_b32 s3, s17
	v_add_co_u32 v1, vcc_lo, s6, v11
	s_delay_alu instid0(VALU_DEP_1)
	v_add_co_ci_u32_e64 v2, null, s7, v12, vcc_lo
	s_wait_kmcnt 0x0
	s_and_b32 s16, s2, 0xffff
	s_and_b32 s2, s14, exec_lo
	s_mul_i32 s4, s16, 3
	s_cselect_b32 s15, s11, 0
	s_add_nc_u64 s[18:19], s[8:9], s[4:5]
	s_cselect_b32 s14, s10, 0x10000
	s_add_nc_u64 s[18:19], s[6:7], s[18:19]
	s_lshl_b32 s2, s16, 1
	v_add_co_u32 v3, s5, s18, v0
	s_delay_alu instid0(VALU_DEP_1)
	v_add_co_ci_u32_e64 v4, null, s19, 0, s5
	s_wait_alu 0xfffe
	s_add_nc_u64 s[18:19], s[8:9], s[2:3]
	v_add_co_u32 v5, s3, s4, v0
	s_wait_alu 0xfffe
	s_add_nc_u64 s[4:5], s[6:7], s[18:19]
	v_add_co_ci_u32_e64 v6, null, 0, 0, s3
	s_wait_alu 0xfffe
	v_add_co_u32 v7, s3, s4, v0
	v_add_co_u32 v9, s2, s2, v0
	s_wait_alu 0xf1ff
	v_add_co_ci_u32_e64 v8, null, s5, 0, s3
	v_add_co_ci_u32_e64 v10, null, 0, 0, s2
	s_add_nc_u64 s[2:3], s[6:7], s[16:17]
	s_mov_b64 s[18:19], 0
	s_wait_alu 0xfffe
	v_add_co_u32 v11, vcc_lo, s2, v11
	v_add_co_u32 v13, s2, v0, s16
	s_wait_alu 0xfffd
	v_add_co_ci_u32_e64 v12, null, s3, v12, vcc_lo
	s_wait_alu 0xf1ff
	v_add_co_ci_u32_e64 v14, null, 0, 0, s2
	s_lshl_b32 s16, s16, 2
	s_branch .LBB57_4
.LBB57_3:                               ;   in Loop: Header=BB57_4 Depth=1
	s_wait_alu 0xfffe
	s_or_b32 exec_lo, exec_lo, s2
	s_add_nc_u64 s[18:19], s[18:19], s[16:17]
	s_wait_alu 0xfffe
	v_cmp_lt_i64_e64 s2, s[18:19], s[12:13]
	s_and_b32 vcc_lo, exec_lo, s2
	s_wait_alu 0xfffe
	s_cbranch_vccz .LBB57_20
.LBB57_4:                               ; =>This Inner Loop Header: Depth=1
	v_add_co_u32 v15, s2, v0, s18
	s_wait_alu 0xf1ff
	v_add_co_ci_u32_e64 v16, null, 0, s19, s2
	s_delay_alu instid0(VALU_DEP_1)
	v_cmp_gt_u64_e32 vcc_lo, s[14:15], v[15:16]
	v_mov_b32_e32 v15, 0
	s_and_saveexec_b32 s3, vcc_lo
	s_cbranch_execz .LBB57_6
; %bb.5:                                ;   in Loop: Header=BB57_4 Depth=1
	v_add_co_u32 v15, s2, v1, s18
	s_wait_alu 0xf1ff
	v_add_co_ci_u32_e64 v16, null, s19, v2, s2
	global_load_u8 v15, v[15:16], off
.LBB57_6:                               ;   in Loop: Header=BB57_4 Depth=1
	s_wait_alu 0xfffe
	s_or_b32 exec_lo, exec_lo, s3
	v_add_co_u32 v16, s2, v13, s18
	s_wait_alu 0xf1ff
	v_add_co_ci_u32_e64 v17, null, s19, v14, s2
	s_delay_alu instid0(VALU_DEP_1)
	v_cmp_gt_u64_e64 s2, s[14:15], v[16:17]
	v_dual_mov_b32 v16, 0 :: v_dual_mov_b32 v17, 0
	s_and_saveexec_b32 s4, s2
	s_cbranch_execz .LBB57_8
; %bb.7:                                ;   in Loop: Header=BB57_4 Depth=1
	v_add_co_u32 v17, s3, v11, s18
	s_wait_alu 0xf1ff
	v_add_co_ci_u32_e64 v18, null, s19, v12, s3
	global_load_u8 v17, v[17:18], off
.LBB57_8:                               ;   in Loop: Header=BB57_4 Depth=1
	s_wait_alu 0xfffe
	s_or_b32 exec_lo, exec_lo, s4
	v_add_co_u32 v18, s3, v9, s18
	s_wait_alu 0xf1ff
	v_add_co_ci_u32_e64 v19, null, s19, v10, s3
	s_delay_alu instid0(VALU_DEP_1)
	v_cmp_gt_u64_e64 s3, s[14:15], v[18:19]
	s_and_saveexec_b32 s5, s3
	s_cbranch_execz .LBB57_10
; %bb.9:                                ;   in Loop: Header=BB57_4 Depth=1
	v_add_co_u32 v18, s4, v7, s18
	s_wait_alu 0xf1ff
	v_add_co_ci_u32_e64 v19, null, s19, v8, s4
	global_load_u8 v16, v[18:19], off
.LBB57_10:                              ;   in Loop: Header=BB57_4 Depth=1
	s_wait_alu 0xfffe
	s_or_b32 exec_lo, exec_lo, s5
	v_add_co_u32 v18, s4, v5, s18
	s_wait_alu 0xf1ff
	v_add_co_ci_u32_e64 v19, null, s19, v6, s4
	s_delay_alu instid0(VALU_DEP_1)
	v_cmp_gt_u64_e64 s4, s[14:15], v[18:19]
	v_mov_b32_e32 v18, 0
	s_and_saveexec_b32 s20, s4
	s_cbranch_execz .LBB57_12
; %bb.11:                               ;   in Loop: Header=BB57_4 Depth=1
	v_add_co_u32 v18, s5, v3, s18
	s_wait_alu 0xf1ff
	v_add_co_ci_u32_e64 v19, null, s19, v4, s5
	global_load_u8 v18, v[18:19], off
.LBB57_12:                              ;   in Loop: Header=BB57_4 Depth=1
	s_or_b32 exec_lo, exec_lo, s20
	s_wait_loadcnt 0x0
	v_and_b32_e32 v17, 1, v17
	v_and_b32_e32 v18, 1, v18
	;; [unrolled: 1-line block ×4, first 2 shown]
	s_delay_alu instid0(VALU_DEP_4) | instskip(NEXT) | instid1(VALU_DEP_4)
	v_lshlrev_b16 v17, 8, v17
	v_lshlrev_b16 v18, 8, v18
	s_delay_alu instid0(VALU_DEP_2) | instskip(NEXT) | instid1(VALU_DEP_2)
	v_or_b32_e32 v15, v15, v17
	v_or_b32_e32 v16, v16, v18
	s_delay_alu instid0(VALU_DEP_2) | instskip(NEXT) | instid1(VALU_DEP_2)
	v_and_b32_e32 v15, 0xffff, v15
	v_lshlrev_b32_e32 v16, 16, v16
	s_delay_alu instid0(VALU_DEP_1)
	v_or_b32_e32 v15, v15, v16
	s_and_saveexec_b32 s5, vcc_lo
	s_cbranch_execnz .LBB57_16
; %bb.13:                               ;   in Loop: Header=BB57_4 Depth=1
	s_wait_alu 0xfffe
	s_or_b32 exec_lo, exec_lo, s5
	s_and_saveexec_b32 s5, s2
	s_cbranch_execnz .LBB57_17
.LBB57_14:                              ;   in Loop: Header=BB57_4 Depth=1
	s_wait_alu 0xfffe
	s_or_b32 exec_lo, exec_lo, s5
	s_and_saveexec_b32 s2, s3
	s_cbranch_execnz .LBB57_18
.LBB57_15:                              ;   in Loop: Header=BB57_4 Depth=1
	s_wait_alu 0xfffe
	s_or_b32 exec_lo, exec_lo, s2
	s_and_saveexec_b32 s2, s4
	s_cbranch_execz .LBB57_3
	s_branch .LBB57_19
.LBB57_16:                              ;   in Loop: Header=BB57_4 Depth=1
	v_add_co_u32 v16, vcc_lo, v1, s18
	s_wait_alu 0xfffd
	v_add_co_ci_u32_e64 v17, null, s19, v2, vcc_lo
	global_store_b8 v[16:17], v15, off
	s_wait_alu 0xfffe
	s_or_b32 exec_lo, exec_lo, s5
	s_and_saveexec_b32 s5, s2
	s_cbranch_execz .LBB57_14
.LBB57_17:                              ;   in Loop: Header=BB57_4 Depth=1
	v_add_co_u32 v16, vcc_lo, v11, s18
	s_wait_alu 0xfffd
	v_add_co_ci_u32_e64 v17, null, s19, v12, vcc_lo
	v_lshrrev_b32_e32 v18, 8, v15
	global_store_b8 v[16:17], v18, off
	s_wait_alu 0xfffe
	s_or_b32 exec_lo, exec_lo, s5
	s_and_saveexec_b32 s2, s3
	s_cbranch_execz .LBB57_15
.LBB57_18:                              ;   in Loop: Header=BB57_4 Depth=1
	v_add_co_u32 v16, vcc_lo, v7, s18
	s_wait_alu 0xfffd
	v_add_co_ci_u32_e64 v17, null, s19, v8, vcc_lo
	global_store_d16_hi_b8 v[16:17], v15, off
	s_wait_alu 0xfffe
	s_or_b32 exec_lo, exec_lo, s2
	s_and_saveexec_b32 s2, s4
	s_cbranch_execz .LBB57_3
.LBB57_19:                              ;   in Loop: Header=BB57_4 Depth=1
	v_add_co_u32 v16, vcc_lo, v3, s18
	s_wait_alu 0xfffd
	v_add_co_ci_u32_e64 v17, null, s19, v4, vcc_lo
	v_lshrrev_b32_e32 v15, 24, v15
	global_store_b8 v[16:17], v15, off
	s_branch .LBB57_3
.LBB57_20:
	s_cbranch_execz .LBB57_22
	s_branch .LBB57_25
.LBB57_21:
.LBB57_22:
	v_cmp_gt_i64_e64 s2, 0x10000, s[10:11]
	v_dual_mov_b32 v3, 0 :: v_dual_lshlrev_b32 v2, 2, v0
	s_mov_b32 s4, 0
	s_mov_b32 s5, exec_lo
	s_and_b32 s2, s2, exec_lo
	s_cselect_b32 s3, s11, 0
	s_cselect_b32 s2, s10, 0x10000
	s_wait_alu 0xfffe
	v_cmpx_gt_i64_e64 s[2:3], v[2:3]
	s_cbranch_execz .LBB57_25
; %bb.23:
	s_load_b32 s5, s[0:1], 0xd4c
	s_add_nc_u64 s[0:1], s[6:7], s[8:9]
	v_mov_b32_e32 v1, v3
	v_add_co_u32 v2, s0, s0, v2
	s_wait_alu 0xf1ff
	v_add_co_ci_u32_e64 v3, null, s1, 0, s0
	s_wait_kmcnt 0x0
	s_and_b32 s1, s5, 0xffff
	s_wait_alu 0xfffe
	s_lshl_b32 s5, s1, 2
.LBB57_24:                              ; =>This Inner Loop Header: Depth=1
	global_load_b32 v6, v[2:3], off
	v_add_co_u32 v0, vcc_lo, v0, s1
	s_wait_alu 0xfffd
	v_add_co_ci_u32_e64 v1, null, 0, v1, vcc_lo
	s_delay_alu instid0(VALU_DEP_1) | instskip(NEXT) | instid1(VALU_DEP_1)
	v_lshlrev_b64_e32 v[4:5], 2, v[0:1]
	v_cmp_le_i64_e32 vcc_lo, s[2:3], v[4:5]
	s_or_b32 s4, vcc_lo, s4
	s_wait_loadcnt 0x0
	v_and_b32_e32 v6, 0x1010101, v6
	global_store_b32 v[2:3], v6, off
	s_wait_alu 0xfffe
	v_add_co_u32 v2, s0, v2, s5
	s_wait_alu 0xf1ff
	v_add_co_ci_u32_e64 v3, null, 0, v3, s0
	s_and_not1_b32 exec_lo, exec_lo, s4
	s_cbranch_execnz .LBB57_24
.LBB57_25:
	s_endpgm
	.section	.rodata,"a",@progbits
	.p2align	6, 0x0
	.amdhsa_kernel _ZN2at6native12_GLOBAL__N_125multi_tensor_apply_kernelINS1_18TensorListMetadataILi1EEENS1_27BinaryOpScalarTensorFunctorIbLi1ELi1ELi0EEEJSt7dividesIbEPbbEEEvT_T0_DpT1_
		.amdhsa_group_segment_fixed_size 0
		.amdhsa_private_segment_fixed_size 0
		.amdhsa_kernarg_size 3648
		.amdhsa_user_sgpr_count 2
		.amdhsa_user_sgpr_dispatch_ptr 0
		.amdhsa_user_sgpr_queue_ptr 0
		.amdhsa_user_sgpr_kernarg_segment_ptr 1
		.amdhsa_user_sgpr_dispatch_id 0
		.amdhsa_user_sgpr_private_segment_size 0
		.amdhsa_wavefront_size32 1
		.amdhsa_uses_dynamic_stack 0
		.amdhsa_enable_private_segment 0
		.amdhsa_system_sgpr_workgroup_id_x 1
		.amdhsa_system_sgpr_workgroup_id_y 0
		.amdhsa_system_sgpr_workgroup_id_z 0
		.amdhsa_system_sgpr_workgroup_info 0
		.amdhsa_system_vgpr_workitem_id 0
		.amdhsa_next_free_vgpr 20
		.amdhsa_next_free_sgpr 21
		.amdhsa_reserve_vcc 1
		.amdhsa_float_round_mode_32 0
		.amdhsa_float_round_mode_16_64 0
		.amdhsa_float_denorm_mode_32 3
		.amdhsa_float_denorm_mode_16_64 3
		.amdhsa_fp16_overflow 0
		.amdhsa_workgroup_processor_mode 1
		.amdhsa_memory_ordered 1
		.amdhsa_forward_progress 1
		.amdhsa_inst_pref_size 11
		.amdhsa_round_robin_scheduling 0
		.amdhsa_exception_fp_ieee_invalid_op 0
		.amdhsa_exception_fp_denorm_src 0
		.amdhsa_exception_fp_ieee_div_zero 0
		.amdhsa_exception_fp_ieee_overflow 0
		.amdhsa_exception_fp_ieee_underflow 0
		.amdhsa_exception_fp_ieee_inexact 0
		.amdhsa_exception_int_div_zero 0
	.end_amdhsa_kernel
	.section	.text._ZN2at6native12_GLOBAL__N_125multi_tensor_apply_kernelINS1_18TensorListMetadataILi1EEENS1_27BinaryOpScalarTensorFunctorIbLi1ELi1ELi0EEEJSt7dividesIbEPbbEEEvT_T0_DpT1_,"axG",@progbits,_ZN2at6native12_GLOBAL__N_125multi_tensor_apply_kernelINS1_18TensorListMetadataILi1EEENS1_27BinaryOpScalarTensorFunctorIbLi1ELi1ELi0EEEJSt7dividesIbEPbbEEEvT_T0_DpT1_,comdat
.Lfunc_end57:
	.size	_ZN2at6native12_GLOBAL__N_125multi_tensor_apply_kernelINS1_18TensorListMetadataILi1EEENS1_27BinaryOpScalarTensorFunctorIbLi1ELi1ELi0EEEJSt7dividesIbEPbbEEEvT_T0_DpT1_, .Lfunc_end57-_ZN2at6native12_GLOBAL__N_125multi_tensor_apply_kernelINS1_18TensorListMetadataILi1EEENS1_27BinaryOpScalarTensorFunctorIbLi1ELi1ELi0EEEJSt7dividesIbEPbbEEEvT_T0_DpT1_
                                        ; -- End function
	.set _ZN2at6native12_GLOBAL__N_125multi_tensor_apply_kernelINS1_18TensorListMetadataILi1EEENS1_27BinaryOpScalarTensorFunctorIbLi1ELi1ELi0EEEJSt7dividesIbEPbbEEEvT_T0_DpT1_.num_vgpr, 20
	.set _ZN2at6native12_GLOBAL__N_125multi_tensor_apply_kernelINS1_18TensorListMetadataILi1EEENS1_27BinaryOpScalarTensorFunctorIbLi1ELi1ELi0EEEJSt7dividesIbEPbbEEEvT_T0_DpT1_.num_agpr, 0
	.set _ZN2at6native12_GLOBAL__N_125multi_tensor_apply_kernelINS1_18TensorListMetadataILi1EEENS1_27BinaryOpScalarTensorFunctorIbLi1ELi1ELi0EEEJSt7dividesIbEPbbEEEvT_T0_DpT1_.numbered_sgpr, 21
	.set _ZN2at6native12_GLOBAL__N_125multi_tensor_apply_kernelINS1_18TensorListMetadataILi1EEENS1_27BinaryOpScalarTensorFunctorIbLi1ELi1ELi0EEEJSt7dividesIbEPbbEEEvT_T0_DpT1_.num_named_barrier, 0
	.set _ZN2at6native12_GLOBAL__N_125multi_tensor_apply_kernelINS1_18TensorListMetadataILi1EEENS1_27BinaryOpScalarTensorFunctorIbLi1ELi1ELi0EEEJSt7dividesIbEPbbEEEvT_T0_DpT1_.private_seg_size, 0
	.set _ZN2at6native12_GLOBAL__N_125multi_tensor_apply_kernelINS1_18TensorListMetadataILi1EEENS1_27BinaryOpScalarTensorFunctorIbLi1ELi1ELi0EEEJSt7dividesIbEPbbEEEvT_T0_DpT1_.uses_vcc, 1
	.set _ZN2at6native12_GLOBAL__N_125multi_tensor_apply_kernelINS1_18TensorListMetadataILi1EEENS1_27BinaryOpScalarTensorFunctorIbLi1ELi1ELi0EEEJSt7dividesIbEPbbEEEvT_T0_DpT1_.uses_flat_scratch, 0
	.set _ZN2at6native12_GLOBAL__N_125multi_tensor_apply_kernelINS1_18TensorListMetadataILi1EEENS1_27BinaryOpScalarTensorFunctorIbLi1ELi1ELi0EEEJSt7dividesIbEPbbEEEvT_T0_DpT1_.has_dyn_sized_stack, 0
	.set _ZN2at6native12_GLOBAL__N_125multi_tensor_apply_kernelINS1_18TensorListMetadataILi1EEENS1_27BinaryOpScalarTensorFunctorIbLi1ELi1ELi0EEEJSt7dividesIbEPbbEEEvT_T0_DpT1_.has_recursion, 0
	.set _ZN2at6native12_GLOBAL__N_125multi_tensor_apply_kernelINS1_18TensorListMetadataILi1EEENS1_27BinaryOpScalarTensorFunctorIbLi1ELi1ELi0EEEJSt7dividesIbEPbbEEEvT_T0_DpT1_.has_indirect_call, 0
	.section	.AMDGPU.csdata,"",@progbits
; Kernel info:
; codeLenInByte = 1328
; TotalNumSgprs: 23
; NumVgprs: 20
; ScratchSize: 0
; MemoryBound: 0
; FloatMode: 240
; IeeeMode: 1
; LDSByteSize: 0 bytes/workgroup (compile time only)
; SGPRBlocks: 0
; VGPRBlocks: 2
; NumSGPRsForWavesPerEU: 23
; NumVGPRsForWavesPerEU: 20
; Occupancy: 16
; WaveLimiterHint : 0
; COMPUTE_PGM_RSRC2:SCRATCH_EN: 0
; COMPUTE_PGM_RSRC2:USER_SGPR: 2
; COMPUTE_PGM_RSRC2:TRAP_HANDLER: 0
; COMPUTE_PGM_RSRC2:TGID_X_EN: 1
; COMPUTE_PGM_RSRC2:TGID_Y_EN: 0
; COMPUTE_PGM_RSRC2:TGID_Z_EN: 0
; COMPUTE_PGM_RSRC2:TIDIG_COMP_CNT: 0
	.section	.text._ZN2at6native12_GLOBAL__N_125multi_tensor_apply_kernelINS1_18TensorListMetadataILi1EEENS1_27BinaryOpScalarTensorFunctorIN3c104HalfELi1ELi1ELi0EEEJSt7dividesIfEPS7_fEEEvT_T0_DpT1_,"axG",@progbits,_ZN2at6native12_GLOBAL__N_125multi_tensor_apply_kernelINS1_18TensorListMetadataILi1EEENS1_27BinaryOpScalarTensorFunctorIN3c104HalfELi1ELi1ELi0EEEJSt7dividesIfEPS7_fEEEvT_T0_DpT1_,comdat
	.globl	_ZN2at6native12_GLOBAL__N_125multi_tensor_apply_kernelINS1_18TensorListMetadataILi1EEENS1_27BinaryOpScalarTensorFunctorIN3c104HalfELi1ELi1ELi0EEEJSt7dividesIfEPS7_fEEEvT_T0_DpT1_ ; -- Begin function _ZN2at6native12_GLOBAL__N_125multi_tensor_apply_kernelINS1_18TensorListMetadataILi1EEENS1_27BinaryOpScalarTensorFunctorIN3c104HalfELi1ELi1ELi0EEEJSt7dividesIfEPS7_fEEEvT_T0_DpT1_
	.p2align	8
	.type	_ZN2at6native12_GLOBAL__N_125multi_tensor_apply_kernelINS1_18TensorListMetadataILi1EEENS1_27BinaryOpScalarTensorFunctorIN3c104HalfELi1ELi1ELi0EEEJSt7dividesIfEPS7_fEEEvT_T0_DpT1_,@function
_ZN2at6native12_GLOBAL__N_125multi_tensor_apply_kernelINS1_18TensorListMetadataILi1EEENS1_27BinaryOpScalarTensorFunctorIN3c104HalfELi1ELi1ELi0EEEJSt7dividesIfEPS7_fEEEvT_T0_DpT1_: ; @_ZN2at6native12_GLOBAL__N_125multi_tensor_apply_kernelINS1_18TensorListMetadataILi1EEENS1_27BinaryOpScalarTensorFunctorIN3c104HalfELi1ELi1ELi0EEEJSt7dividesIfEPS7_fEEEvT_T0_DpT1_
; %bb.0:
	s_mov_b32 s2, ttmp9
	s_mov_b32 s3, 0
	s_delay_alu instid0(SALU_CYCLE_1)
	s_mul_u64 s[4:5], s[2:3], 3
	s_add_nc_u64 s[6:7], s[0:1], s[2:3]
	s_mov_b32 s17, s3
	s_add_nc_u64 s[4:5], s[6:7], s[4:5]
	s_clause 0x1
	s_load_b32 s4, s[4:5], 0x820
	s_load_u8 s2, s[0:1], ttmp9 offset:0x6e0
	s_wait_kmcnt 0x0
	s_ashr_i32 s5, s4, 31
	s_lshl_b32 s2, s2, 3
	s_clause 0x2
	s_load_b64 s[6:7], s[0:1], s2 offset:0x0
	s_load_b64 s[14:15], s[0:1], s2 offset:0x370
	s_load_b96 s[8:10], s[0:1], 0xd30
	s_lshl_b64 s[12:13], s[4:5], 17
	s_lshl_b64 s[4:5], s[4:5], 16
	s_wait_kmcnt 0x0
	s_and_b32 s2, s6, 7
	s_and_b32 s16, s14, 3
	s_sub_nc_u64 s[14:15], s[14:15], s[4:5]
	s_or_b64 s[2:3], s[2:3], s[16:17]
	s_delay_alu instid0(SALU_CYCLE_1)
	s_cmp_eq_u64 s[2:3], 0
	s_cbranch_scc1 .LBB58_21
; %bb.1:
	v_cmp_lt_i64_e64 s2, s[14:15], 1
	s_and_b32 vcc_lo, exec_lo, s2
	s_cbranch_vccnz .LBB58_20
; %bb.2:
	s_load_b32 s2, s[0:1], 0xd4c
	v_cmp_gt_i64_e64 s11, 0x10000, s[14:15]
	v_lshlrev_b32_e32 v1, 1, v0
	s_add_nc_u64 s[4:5], s[6:7], s[12:13]
	v_cmp_gt_u64_e64 s18, 0x10000, s[14:15]
	v_mov_b32_e32 v5, 0
	s_mov_b32 s3, 0
	v_add_co_u32 v1, s16, s4, v1
	s_and_b32 s11, s11, exec_lo
	v_add_co_ci_u32_e64 v2, null, s5, 0, s16
	s_cselect_b32 s17, s15, 0
	s_cselect_b32 s16, s14, 0x10000
	s_wait_kmcnt 0x0
	s_and_b32 s2, s2, 0xffff
	s_and_b32 s11, s18, exec_lo
	v_add_co_u32 v6, s24, v0, s2
	s_cselect_b32 s19, s15, 0
	s_cselect_b32 s18, s14, 0x10000
	s_lshl_b32 s11, s2, 1
	v_lshlrev_b32_e32 v3, 1, v6
	s_mul_i32 s21, s2, 3
	v_add_co_u32 v10, s11, s11, v0
	v_add_co_u32 v7, s21, s21, v0
	s_delay_alu instid0(VALU_DEP_3)
	v_add_co_u32 v3, s4, s4, v3
	s_wait_alu 0xf1ff
	v_add_co_ci_u32_e64 v8, null, 0, 0, s21
	v_add_co_ci_u32_e64 v9, null, 0, 0, s24
	;; [unrolled: 1-line block ×4, first 2 shown]
	s_lshl_b32 s20, s2, 2
	s_mul_u64 s[22:23], s[2:3], 6
	s_mov_b32 s21, s3
	s_lshl_b32 s11, s2, 3
	s_mov_b64 s[24:25], 0
	s_branch .LBB58_4
.LBB58_3:                               ;   in Loop: Header=BB58_4 Depth=1
	s_wait_alu 0xfffe
	s_or_b32 exec_lo, exec_lo, s3
	s_add_nc_u64 s[24:25], s[24:25], s[20:21]
	v_add_co_u32 v1, vcc_lo, v1, s11
	s_wait_alu 0xfffe
	v_cmp_lt_i64_e64 s2, s[24:25], s[16:17]
	s_wait_alu 0xfffd
	v_add_co_ci_u32_e64 v2, null, 0, v2, vcc_lo
	v_add_co_u32 v3, vcc_lo, v3, s11
	s_wait_alu 0xfffd
	v_add_co_ci_u32_e64 v4, null, 0, v4, vcc_lo
	s_and_b32 vcc_lo, exec_lo, s2
	s_wait_alu 0xfffe
	s_cbranch_vccz .LBB58_20
.LBB58_4:                               ; =>This Inner Loop Header: Depth=1
	s_wait_alu 0xfffe
	v_add_co_u32 v12, s2, v0, s24
	s_wait_alu 0xf1ff
	v_add_co_ci_u32_e64 v13, null, 0, s25, s2
	v_mov_b32_e32 v16, 0
	s_delay_alu instid0(VALU_DEP_2)
	v_cmp_gt_u64_e32 vcc_lo, s[18:19], v[12:13]
	s_and_saveexec_b32 s2, vcc_lo
	s_cbranch_execz .LBB58_6
; %bb.5:                                ;   in Loop: Header=BB58_4 Depth=1
	global_load_u16 v12, v[1:2], off
	s_wait_loadcnt 0x0
	v_cvt_f32_f16_e32 v16, v12
.LBB58_6:                               ;   in Loop: Header=BB58_4 Depth=1
	s_wait_alu 0xfffe
	s_or_b32 exec_lo, exec_lo, s2
	v_add_co_u32 v12, s2, v6, s24
	s_wait_alu 0xf1ff
	v_add_co_ci_u32_e64 v13, null, s25, v9, s2
	v_mov_b32_e32 v14, 0
	s_delay_alu instid0(VALU_DEP_2)
	v_cmp_gt_u64_e64 s4, s[18:19], v[12:13]
	v_mov_b32_e32 v12, 0
	s_and_saveexec_b32 s2, s4
	s_cbranch_execz .LBB58_8
; %bb.7:                                ;   in Loop: Header=BB58_4 Depth=1
	global_load_u16 v13, v[3:4], off
	s_wait_loadcnt 0x0
	v_cvt_f32_f16_e32 v14, v13
.LBB58_8:                               ;   in Loop: Header=BB58_4 Depth=1
	s_wait_alu 0xfffe
	s_or_b32 exec_lo, exec_lo, s2
	v_add_co_u32 v17, s2, v10, s24
	s_wait_alu 0xf1ff
	v_add_co_ci_u32_e64 v18, null, s25, v11, s2
	s_delay_alu instid0(VALU_DEP_1)
	v_cmp_gt_u64_e64 s3, s[18:19], v[17:18]
	s_and_saveexec_b32 s5, s3
	s_cbranch_execz .LBB58_10
; %bb.9:                                ;   in Loop: Header=BB58_4 Depth=1
	v_add_co_u32 v12, s2, v1, s20
	s_wait_alu 0xf1ff
	v_add_co_ci_u32_e64 v13, null, 0, v2, s2
	global_load_u16 v12, v[12:13], off
	s_wait_loadcnt 0x0
	v_cvt_f32_f16_e32 v12, v12
.LBB58_10:                              ;   in Loop: Header=BB58_4 Depth=1
	s_wait_alu 0xfffe
	s_or_b32 exec_lo, exec_lo, s5
	v_add_co_u32 v17, s2, v7, s24
	s_wait_alu 0xf1ff
	v_add_co_ci_u32_e64 v18, null, s25, v8, s2
	v_mov_b32_e32 v13, 0
	s_delay_alu instid0(VALU_DEP_2)
	v_cmp_gt_u64_e64 s2, s[18:19], v[17:18]
	s_and_saveexec_b32 s26, s2
	s_cbranch_execz .LBB58_12
; %bb.11:                               ;   in Loop: Header=BB58_4 Depth=1
	v_add_co_u32 v17, s5, v1, s22
	s_wait_alu 0xf1ff
	v_add_co_ci_u32_e64 v18, null, s23, v2, s5
	global_load_u16 v13, v[17:18], off
	s_wait_loadcnt 0x0
	v_cvt_f32_f16_e32 v13, v13
.LBB58_12:                              ;   in Loop: Header=BB58_4 Depth=1
	s_or_b32 exec_lo, exec_lo, s26
	global_load_u16 v15, v5, s[8:9]
	s_wait_loadcnt 0x0
	v_cvt_f32_f16_e32 v15, v15
	s_delay_alu instid0(VALU_DEP_1)
	v_mul_f32_e32 v15, s10, v15
	s_and_saveexec_b32 s5, vcc_lo
	s_cbranch_execnz .LBB58_16
; %bb.13:                               ;   in Loop: Header=BB58_4 Depth=1
	s_wait_alu 0xfffe
	s_or_b32 exec_lo, exec_lo, s5
	s_and_saveexec_b32 s5, s4
	s_cbranch_execnz .LBB58_17
.LBB58_14:                              ;   in Loop: Header=BB58_4 Depth=1
	s_wait_alu 0xfffe
	s_or_b32 exec_lo, exec_lo, s5
	s_and_saveexec_b32 s4, s3
	s_cbranch_execnz .LBB58_18
.LBB58_15:                              ;   in Loop: Header=BB58_4 Depth=1
	s_wait_alu 0xfffe
	s_or_b32 exec_lo, exec_lo, s4
	s_and_saveexec_b32 s3, s2
	s_cbranch_execz .LBB58_3
	s_branch .LBB58_19
.LBB58_16:                              ;   in Loop: Header=BB58_4 Depth=1
	s_delay_alu instid0(VALU_DEP_1) | instskip(NEXT) | instid1(VALU_DEP_1)
	v_div_scale_f32 v17, null, v15, v15, v16
	v_rcp_f32_e32 v18, v17
	s_delay_alu instid0(TRANS32_DEP_1) | instskip(NEXT) | instid1(VALU_DEP_1)
	v_fma_f32 v19, -v17, v18, 1.0
	v_fmac_f32_e32 v18, v19, v18
	v_div_scale_f32 v19, vcc_lo, v16, v15, v16
	s_delay_alu instid0(VALU_DEP_1) | instskip(NEXT) | instid1(VALU_DEP_1)
	v_mul_f32_e32 v20, v19, v18
	v_fma_f32 v21, -v17, v20, v19
	s_delay_alu instid0(VALU_DEP_1) | instskip(NEXT) | instid1(VALU_DEP_1)
	v_fmac_f32_e32 v20, v21, v18
	v_fma_f32 v17, -v17, v20, v19
	s_wait_alu 0xfffd
	s_delay_alu instid0(VALU_DEP_1) | instskip(NEXT) | instid1(VALU_DEP_1)
	v_div_fmas_f32 v17, v17, v18, v20
	v_div_fixup_f32 v16, v17, v15, v16
	s_delay_alu instid0(VALU_DEP_1)
	v_cvt_f16_f32_e32 v16, v16
	global_store_b16 v[1:2], v16, off
	s_wait_alu 0xfffe
	s_or_b32 exec_lo, exec_lo, s5
	s_and_saveexec_b32 s5, s4
	s_cbranch_execz .LBB58_14
.LBB58_17:                              ;   in Loop: Header=BB58_4 Depth=1
	v_div_scale_f32 v16, null, v15, v15, v14
	s_delay_alu instid0(VALU_DEP_1) | instskip(NEXT) | instid1(TRANS32_DEP_1)
	v_rcp_f32_e32 v17, v16
	v_fma_f32 v18, -v16, v17, 1.0
	s_delay_alu instid0(VALU_DEP_1) | instskip(SKIP_1) | instid1(VALU_DEP_1)
	v_fmac_f32_e32 v17, v18, v17
	v_div_scale_f32 v18, vcc_lo, v14, v15, v14
	v_mul_f32_e32 v19, v18, v17
	s_delay_alu instid0(VALU_DEP_1) | instskip(NEXT) | instid1(VALU_DEP_1)
	v_fma_f32 v20, -v16, v19, v18
	v_fmac_f32_e32 v19, v20, v17
	s_delay_alu instid0(VALU_DEP_1) | instskip(SKIP_1) | instid1(VALU_DEP_1)
	v_fma_f32 v16, -v16, v19, v18
	s_wait_alu 0xfffd
	v_div_fmas_f32 v16, v16, v17, v19
	s_delay_alu instid0(VALU_DEP_1) | instskip(NEXT) | instid1(VALU_DEP_1)
	v_div_fixup_f32 v14, v16, v15, v14
	v_cvt_f16_f32_e32 v14, v14
	global_store_b16 v[3:4], v14, off
	s_wait_alu 0xfffe
	s_or_b32 exec_lo, exec_lo, s5
	s_and_saveexec_b32 s4, s3
	s_cbranch_execz .LBB58_15
.LBB58_18:                              ;   in Loop: Header=BB58_4 Depth=1
	v_div_scale_f32 v14, null, v15, v15, v12
	v_div_scale_f32 v18, vcc_lo, v12, v15, v12
	s_delay_alu instid0(VALU_DEP_2) | instskip(NEXT) | instid1(TRANS32_DEP_1)
	v_rcp_f32_e32 v16, v14
	v_fma_f32 v17, -v14, v16, 1.0
	s_delay_alu instid0(VALU_DEP_1) | instskip(NEXT) | instid1(VALU_DEP_1)
	v_fmac_f32_e32 v16, v17, v16
	v_mul_f32_e32 v17, v18, v16
	s_delay_alu instid0(VALU_DEP_1) | instskip(NEXT) | instid1(VALU_DEP_1)
	v_fma_f32 v19, -v14, v17, v18
	v_fmac_f32_e32 v17, v19, v16
	s_delay_alu instid0(VALU_DEP_1) | instskip(SKIP_1) | instid1(VALU_DEP_1)
	v_fma_f32 v14, -v14, v17, v18
	s_wait_alu 0xfffd
	v_div_fmas_f32 v14, v14, v16, v17
	v_add_co_u32 v16, vcc_lo, v1, s20
	s_wait_alu 0xfffd
	v_add_co_ci_u32_e64 v17, null, 0, v2, vcc_lo
	s_delay_alu instid0(VALU_DEP_3) | instskip(NEXT) | instid1(VALU_DEP_1)
	v_div_fixup_f32 v12, v14, v15, v12
	v_cvt_f16_f32_e32 v12, v12
	global_store_b16 v[16:17], v12, off
	s_wait_alu 0xfffe
	s_or_b32 exec_lo, exec_lo, s4
	s_and_saveexec_b32 s3, s2
	s_cbranch_execz .LBB58_3
.LBB58_19:                              ;   in Loop: Header=BB58_4 Depth=1
	v_div_scale_f32 v12, null, v15, v15, v13
	v_div_scale_f32 v17, vcc_lo, v13, v15, v13
	s_delay_alu instid0(VALU_DEP_2) | instskip(NEXT) | instid1(TRANS32_DEP_1)
	v_rcp_f32_e32 v14, v12
	v_fma_f32 v16, -v12, v14, 1.0
	s_delay_alu instid0(VALU_DEP_1) | instskip(NEXT) | instid1(VALU_DEP_1)
	v_fmac_f32_e32 v14, v16, v14
	v_mul_f32_e32 v16, v17, v14
	s_delay_alu instid0(VALU_DEP_1) | instskip(NEXT) | instid1(VALU_DEP_1)
	v_fma_f32 v18, -v12, v16, v17
	v_fmac_f32_e32 v16, v18, v14
	s_delay_alu instid0(VALU_DEP_1) | instskip(SKIP_1) | instid1(VALU_DEP_1)
	v_fma_f32 v12, -v12, v16, v17
	s_wait_alu 0xfffd
	v_div_fmas_f32 v12, v12, v14, v16
	s_delay_alu instid0(VALU_DEP_1) | instskip(NEXT) | instid1(VALU_DEP_1)
	v_div_fixup_f32 v12, v12, v15, v13
	v_cvt_f16_f32_e32 v14, v12
	v_add_co_u32 v12, vcc_lo, v1, s22
	s_wait_alu 0xfffd
	v_add_co_ci_u32_e64 v13, null, s23, v2, vcc_lo
	global_store_b16 v[12:13], v14, off
	s_branch .LBB58_3
.LBB58_20:
	s_cbranch_execz .LBB58_22
	s_branch .LBB58_25
.LBB58_21:
.LBB58_22:
	v_cmp_gt_i64_e64 s2, 0x10000, s[14:15]
	v_dual_mov_b32 v2, 0 :: v_dual_lshlrev_b32 v1, 2, v0
	s_mov_b32 s11, 0
	s_and_b32 s2, s2, exec_lo
	s_cselect_b32 s5, s15, 0
	s_cselect_b32 s4, s14, 0x10000
	s_mov_b32 s2, exec_lo
	s_wait_alu 0xfffe
	v_cmpx_gt_i64_e64 s[4:5], v[1:2]
	s_cbranch_execz .LBB58_25
; %bb.23:
	s_load_b32 s2, s[0:1], 0xd4c
	v_lshlrev_b32_e32 v1, 3, v0
	s_add_nc_u64 s[0:1], s[6:7], s[12:13]
	s_delay_alu instid0(VALU_DEP_1) | instid1(SALU_CYCLE_1)
	v_add_co_u32 v3, s0, s0, v1
	s_wait_alu 0xf1ff
	v_add_co_ci_u32_e64 v4, null, s1, 0, s0
	v_mov_b32_e32 v1, v2
	s_delay_alu instid0(VALU_DEP_3) | instskip(SKIP_1) | instid1(VALU_DEP_3)
	v_add_co_u32 v3, vcc_lo, v3, 4
	s_wait_alu 0xfffd
	v_add_co_ci_u32_e64 v4, null, 0, v4, vcc_lo
	s_wait_kmcnt 0x0
	s_and_b32 s6, s2, 0xffff
	s_delay_alu instid0(SALU_CYCLE_1)
	s_lshl_b32 s7, s6, 3
.LBB58_24:                              ; =>This Inner Loop Header: Depth=1
	global_load_u16 v9, v2, s[8:9]
	global_load_b64 v[5:6], v[3:4], off offset:-4
	v_add_co_u32 v0, vcc_lo, v0, s6
	s_wait_alu 0xfffd
	v_add_co_ci_u32_e64 v1, null, 0, v1, vcc_lo
	s_delay_alu instid0(VALU_DEP_1) | instskip(NEXT) | instid1(VALU_DEP_1)
	v_lshlrev_b64_e32 v[7:8], 2, v[0:1]
	v_cmp_le_i64_e64 s0, s[4:5], v[7:8]
	s_or_b32 s11, s0, s11
	s_wait_loadcnt 0x1
	v_cvt_f32_f16_e32 v7, v9
	s_wait_loadcnt 0x0
	v_lshrrev_b32_e32 v8, 16, v5
	v_cvt_f32_f16_e32 v5, v5
	v_lshrrev_b32_e32 v9, 16, v6
	v_cvt_f32_f16_e32 v6, v6
	v_mul_f32_e32 v7, s10, v7
	v_cvt_f32_f16_e32 v8, v8
	s_delay_alu instid0(VALU_DEP_4) | instskip(NEXT) | instid1(VALU_DEP_3)
	v_cvt_f32_f16_e32 v9, v9
	v_div_scale_f32 v10, null, v7, v7, v5
	s_delay_alu instid0(VALU_DEP_1) | instskip(NEXT) | instid1(TRANS32_DEP_1)
	v_rcp_f32_e32 v18, v10
	v_fma_f32 v22, -v10, v18, 1.0
	s_delay_alu instid0(VALU_DEP_1) | instskip(SKIP_3) | instid1(VALU_DEP_3)
	v_fmac_f32_e32 v18, v22, v18
	v_div_scale_f32 v12, null, v7, v7, v8
	v_div_scale_f32 v14, null, v7, v7, v6
	v_div_scale_f32 v16, null, v7, v7, v9
	v_rcp_f32_e32 v19, v12
	s_delay_alu instid0(VALU_DEP_2) | instskip(SKIP_1) | instid1(VALU_DEP_2)
	v_rcp_f32_e32 v20, v14
	v_div_scale_f32 v11, vcc_lo, v5, v7, v5
	v_rcp_f32_e32 v21, v16
	v_div_scale_f32 v13, s1, v8, v7, v8
	v_div_scale_f32 v15, s2, v6, v7, v6
	;; [unrolled: 1-line block ×3, first 2 shown]
	s_delay_alu instid0(TRANS32_DEP_3) | instskip(NEXT) | instid1(TRANS32_DEP_2)
	v_fma_f32 v23, -v12, v19, 1.0
	v_fma_f32 v24, -v14, v20, 1.0
	v_mul_f32_e32 v22, v11, v18
	s_delay_alu instid0(TRANS32_DEP_1) | instskip(NEXT) | instid1(VALU_DEP_3)
	v_fma_f32 v25, -v16, v21, 1.0
	v_dual_fmac_f32 v19, v23, v19 :: v_dual_fmac_f32 v20, v24, v20
	s_delay_alu instid0(VALU_DEP_3) | instskip(NEXT) | instid1(VALU_DEP_3)
	v_fma_f32 v26, -v10, v22, v11
	v_fmac_f32_e32 v21, v25, v21
	s_delay_alu instid0(VALU_DEP_3) | instskip(NEXT) | instid1(VALU_DEP_2)
	v_dual_mul_f32 v23, v13, v19 :: v_dual_mul_f32 v24, v15, v20
	v_dual_fmac_f32 v22, v26, v18 :: v_dual_mul_f32 v25, v17, v21
	s_delay_alu instid0(VALU_DEP_2) | instskip(NEXT) | instid1(VALU_DEP_3)
	v_fma_f32 v27, -v12, v23, v13
	v_fma_f32 v28, -v14, v24, v15
	s_delay_alu instid0(VALU_DEP_3) | instskip(NEXT) | instid1(VALU_DEP_4)
	v_fma_f32 v10, -v10, v22, v11
	v_fma_f32 v29, -v16, v25, v17
	s_delay_alu instid0(VALU_DEP_3) | instskip(SKIP_1) | instid1(VALU_DEP_3)
	v_dual_fmac_f32 v23, v27, v19 :: v_dual_fmac_f32 v24, v28, v20
	s_wait_alu 0xfffd
	v_div_fmas_f32 v10, v10, v18, v22
	s_delay_alu instid0(VALU_DEP_3)
	v_fmac_f32_e32 v25, v29, v21
	s_mov_b32 vcc_lo, s1
	v_fma_f32 v11, -v12, v23, v13
	v_fma_f32 v12, -v14, v24, v15
	v_div_fixup_f32 v5, v10, v7, v5
	v_fma_f32 v13, -v16, v25, v17
	s_wait_alu 0xfffe
	v_div_fmas_f32 v11, v11, v19, v23
	s_mov_b32 vcc_lo, s2
	v_cvt_f16_f32_e32 v5, v5
	s_wait_alu 0xfffe
	v_div_fmas_f32 v12, v12, v20, v24
	s_mov_b32 vcc_lo, s3
	v_div_fixup_f32 v8, v11, v7, v8
	s_wait_alu 0xfffe
	v_div_fmas_f32 v10, v13, v21, v25
	v_div_fixup_f32 v6, v12, v7, v6
	s_delay_alu instid0(VALU_DEP_3) | instskip(NEXT) | instid1(VALU_DEP_3)
	v_cvt_f16_f32_e32 v8, v8
	v_div_fixup_f32 v7, v10, v7, v9
	s_delay_alu instid0(VALU_DEP_3) | instskip(NEXT) | instid1(VALU_DEP_3)
	v_cvt_f16_f32_e32 v6, v6
	v_pack_b32_f16 v5, v5, v8
	s_delay_alu instid0(VALU_DEP_3) | instskip(NEXT) | instid1(VALU_DEP_1)
	v_cvt_f16_f32_e32 v7, v7
	v_pack_b32_f16 v6, v6, v7
	global_store_b64 v[3:4], v[5:6], off offset:-4
	v_add_co_u32 v3, vcc_lo, v3, s7
	s_wait_alu 0xfffd
	v_add_co_ci_u32_e64 v4, null, 0, v4, vcc_lo
	s_and_not1_b32 exec_lo, exec_lo, s11
	s_cbranch_execnz .LBB58_24
.LBB58_25:
	s_endpgm
	.section	.rodata,"a",@progbits
	.p2align	6, 0x0
	.amdhsa_kernel _ZN2at6native12_GLOBAL__N_125multi_tensor_apply_kernelINS1_18TensorListMetadataILi1EEENS1_27BinaryOpScalarTensorFunctorIN3c104HalfELi1ELi1ELi0EEEJSt7dividesIfEPS7_fEEEvT_T0_DpT1_
		.amdhsa_group_segment_fixed_size 0
		.amdhsa_private_segment_fixed_size 0
		.amdhsa_kernarg_size 3648
		.amdhsa_user_sgpr_count 2
		.amdhsa_user_sgpr_dispatch_ptr 0
		.amdhsa_user_sgpr_queue_ptr 0
		.amdhsa_user_sgpr_kernarg_segment_ptr 1
		.amdhsa_user_sgpr_dispatch_id 0
		.amdhsa_user_sgpr_private_segment_size 0
		.amdhsa_wavefront_size32 1
		.amdhsa_uses_dynamic_stack 0
		.amdhsa_enable_private_segment 0
		.amdhsa_system_sgpr_workgroup_id_x 1
		.amdhsa_system_sgpr_workgroup_id_y 0
		.amdhsa_system_sgpr_workgroup_id_z 0
		.amdhsa_system_sgpr_workgroup_info 0
		.amdhsa_system_vgpr_workitem_id 0
		.amdhsa_next_free_vgpr 30
		.amdhsa_next_free_sgpr 27
		.amdhsa_reserve_vcc 1
		.amdhsa_float_round_mode_32 0
		.amdhsa_float_round_mode_16_64 0
		.amdhsa_float_denorm_mode_32 3
		.amdhsa_float_denorm_mode_16_64 3
		.amdhsa_fp16_overflow 0
		.amdhsa_workgroup_processor_mode 1
		.amdhsa_memory_ordered 1
		.amdhsa_forward_progress 1
		.amdhsa_inst_pref_size 17
		.amdhsa_round_robin_scheduling 0
		.amdhsa_exception_fp_ieee_invalid_op 0
		.amdhsa_exception_fp_denorm_src 0
		.amdhsa_exception_fp_ieee_div_zero 0
		.amdhsa_exception_fp_ieee_overflow 0
		.amdhsa_exception_fp_ieee_underflow 0
		.amdhsa_exception_fp_ieee_inexact 0
		.amdhsa_exception_int_div_zero 0
	.end_amdhsa_kernel
	.section	.text._ZN2at6native12_GLOBAL__N_125multi_tensor_apply_kernelINS1_18TensorListMetadataILi1EEENS1_27BinaryOpScalarTensorFunctorIN3c104HalfELi1ELi1ELi0EEEJSt7dividesIfEPS7_fEEEvT_T0_DpT1_,"axG",@progbits,_ZN2at6native12_GLOBAL__N_125multi_tensor_apply_kernelINS1_18TensorListMetadataILi1EEENS1_27BinaryOpScalarTensorFunctorIN3c104HalfELi1ELi1ELi0EEEJSt7dividesIfEPS7_fEEEvT_T0_DpT1_,comdat
.Lfunc_end58:
	.size	_ZN2at6native12_GLOBAL__N_125multi_tensor_apply_kernelINS1_18TensorListMetadataILi1EEENS1_27BinaryOpScalarTensorFunctorIN3c104HalfELi1ELi1ELi0EEEJSt7dividesIfEPS7_fEEEvT_T0_DpT1_, .Lfunc_end58-_ZN2at6native12_GLOBAL__N_125multi_tensor_apply_kernelINS1_18TensorListMetadataILi1EEENS1_27BinaryOpScalarTensorFunctorIN3c104HalfELi1ELi1ELi0EEEJSt7dividesIfEPS7_fEEEvT_T0_DpT1_
                                        ; -- End function
	.set _ZN2at6native12_GLOBAL__N_125multi_tensor_apply_kernelINS1_18TensorListMetadataILi1EEENS1_27BinaryOpScalarTensorFunctorIN3c104HalfELi1ELi1ELi0EEEJSt7dividesIfEPS7_fEEEvT_T0_DpT1_.num_vgpr, 30
	.set _ZN2at6native12_GLOBAL__N_125multi_tensor_apply_kernelINS1_18TensorListMetadataILi1EEENS1_27BinaryOpScalarTensorFunctorIN3c104HalfELi1ELi1ELi0EEEJSt7dividesIfEPS7_fEEEvT_T0_DpT1_.num_agpr, 0
	.set _ZN2at6native12_GLOBAL__N_125multi_tensor_apply_kernelINS1_18TensorListMetadataILi1EEENS1_27BinaryOpScalarTensorFunctorIN3c104HalfELi1ELi1ELi0EEEJSt7dividesIfEPS7_fEEEvT_T0_DpT1_.numbered_sgpr, 27
	.set _ZN2at6native12_GLOBAL__N_125multi_tensor_apply_kernelINS1_18TensorListMetadataILi1EEENS1_27BinaryOpScalarTensorFunctorIN3c104HalfELi1ELi1ELi0EEEJSt7dividesIfEPS7_fEEEvT_T0_DpT1_.num_named_barrier, 0
	.set _ZN2at6native12_GLOBAL__N_125multi_tensor_apply_kernelINS1_18TensorListMetadataILi1EEENS1_27BinaryOpScalarTensorFunctorIN3c104HalfELi1ELi1ELi0EEEJSt7dividesIfEPS7_fEEEvT_T0_DpT1_.private_seg_size, 0
	.set _ZN2at6native12_GLOBAL__N_125multi_tensor_apply_kernelINS1_18TensorListMetadataILi1EEENS1_27BinaryOpScalarTensorFunctorIN3c104HalfELi1ELi1ELi0EEEJSt7dividesIfEPS7_fEEEvT_T0_DpT1_.uses_vcc, 1
	.set _ZN2at6native12_GLOBAL__N_125multi_tensor_apply_kernelINS1_18TensorListMetadataILi1EEENS1_27BinaryOpScalarTensorFunctorIN3c104HalfELi1ELi1ELi0EEEJSt7dividesIfEPS7_fEEEvT_T0_DpT1_.uses_flat_scratch, 0
	.set _ZN2at6native12_GLOBAL__N_125multi_tensor_apply_kernelINS1_18TensorListMetadataILi1EEENS1_27BinaryOpScalarTensorFunctorIN3c104HalfELi1ELi1ELi0EEEJSt7dividesIfEPS7_fEEEvT_T0_DpT1_.has_dyn_sized_stack, 0
	.set _ZN2at6native12_GLOBAL__N_125multi_tensor_apply_kernelINS1_18TensorListMetadataILi1EEENS1_27BinaryOpScalarTensorFunctorIN3c104HalfELi1ELi1ELi0EEEJSt7dividesIfEPS7_fEEEvT_T0_DpT1_.has_recursion, 0
	.set _ZN2at6native12_GLOBAL__N_125multi_tensor_apply_kernelINS1_18TensorListMetadataILi1EEENS1_27BinaryOpScalarTensorFunctorIN3c104HalfELi1ELi1ELi0EEEJSt7dividesIfEPS7_fEEEvT_T0_DpT1_.has_indirect_call, 0
	.section	.AMDGPU.csdata,"",@progbits
; Kernel info:
; codeLenInByte = 2104
; TotalNumSgprs: 29
; NumVgprs: 30
; ScratchSize: 0
; MemoryBound: 0
; FloatMode: 240
; IeeeMode: 1
; LDSByteSize: 0 bytes/workgroup (compile time only)
; SGPRBlocks: 0
; VGPRBlocks: 3
; NumSGPRsForWavesPerEU: 29
; NumVGPRsForWavesPerEU: 30
; Occupancy: 16
; WaveLimiterHint : 0
; COMPUTE_PGM_RSRC2:SCRATCH_EN: 0
; COMPUTE_PGM_RSRC2:USER_SGPR: 2
; COMPUTE_PGM_RSRC2:TRAP_HANDLER: 0
; COMPUTE_PGM_RSRC2:TGID_X_EN: 1
; COMPUTE_PGM_RSRC2:TGID_Y_EN: 0
; COMPUTE_PGM_RSRC2:TGID_Z_EN: 0
; COMPUTE_PGM_RSRC2:TIDIG_COMP_CNT: 0
	.section	.text._ZN2at6native12_GLOBAL__N_125multi_tensor_apply_kernelINS1_18TensorListMetadataILi1EEENS1_27BinaryOpScalarTensorFunctorIN3c108BFloat16ELi1ELi1ELi0EEEJSt7dividesIfEPS7_fEEEvT_T0_DpT1_,"axG",@progbits,_ZN2at6native12_GLOBAL__N_125multi_tensor_apply_kernelINS1_18TensorListMetadataILi1EEENS1_27BinaryOpScalarTensorFunctorIN3c108BFloat16ELi1ELi1ELi0EEEJSt7dividesIfEPS7_fEEEvT_T0_DpT1_,comdat
	.globl	_ZN2at6native12_GLOBAL__N_125multi_tensor_apply_kernelINS1_18TensorListMetadataILi1EEENS1_27BinaryOpScalarTensorFunctorIN3c108BFloat16ELi1ELi1ELi0EEEJSt7dividesIfEPS7_fEEEvT_T0_DpT1_ ; -- Begin function _ZN2at6native12_GLOBAL__N_125multi_tensor_apply_kernelINS1_18TensorListMetadataILi1EEENS1_27BinaryOpScalarTensorFunctorIN3c108BFloat16ELi1ELi1ELi0EEEJSt7dividesIfEPS7_fEEEvT_T0_DpT1_
	.p2align	8
	.type	_ZN2at6native12_GLOBAL__N_125multi_tensor_apply_kernelINS1_18TensorListMetadataILi1EEENS1_27BinaryOpScalarTensorFunctorIN3c108BFloat16ELi1ELi1ELi0EEEJSt7dividesIfEPS7_fEEEvT_T0_DpT1_,@function
_ZN2at6native12_GLOBAL__N_125multi_tensor_apply_kernelINS1_18TensorListMetadataILi1EEENS1_27BinaryOpScalarTensorFunctorIN3c108BFloat16ELi1ELi1ELi0EEEJSt7dividesIfEPS7_fEEEvT_T0_DpT1_: ; @_ZN2at6native12_GLOBAL__N_125multi_tensor_apply_kernelINS1_18TensorListMetadataILi1EEENS1_27BinaryOpScalarTensorFunctorIN3c108BFloat16ELi1ELi1ELi0EEEJSt7dividesIfEPS7_fEEEvT_T0_DpT1_
; %bb.0:
	s_mov_b32 s2, ttmp9
	s_mov_b32 s3, 0
	s_delay_alu instid0(SALU_CYCLE_1)
	s_mul_u64 s[4:5], s[2:3], 3
	s_add_nc_u64 s[6:7], s[0:1], s[2:3]
	s_mov_b32 s17, s3
	s_add_nc_u64 s[4:5], s[6:7], s[4:5]
	s_clause 0x1
	s_load_b32 s4, s[4:5], 0x820
	s_load_u8 s2, s[0:1], ttmp9 offset:0x6e0
	s_wait_kmcnt 0x0
	s_ashr_i32 s5, s4, 31
	s_lshl_b32 s2, s2, 3
	s_clause 0x2
	s_load_b64 s[6:7], s[0:1], s2 offset:0x0
	s_load_b64 s[14:15], s[0:1], s2 offset:0x370
	s_load_b96 s[8:10], s[0:1], 0xd30
	s_lshl_b64 s[12:13], s[4:5], 17
	s_lshl_b64 s[4:5], s[4:5], 16
	s_wait_kmcnt 0x0
	s_and_b32 s2, s6, 7
	s_and_b32 s16, s14, 3
	s_sub_nc_u64 s[14:15], s[14:15], s[4:5]
	s_or_b64 s[2:3], s[2:3], s[16:17]
	s_delay_alu instid0(SALU_CYCLE_1)
	s_cmp_eq_u64 s[2:3], 0
	s_cbranch_scc1 .LBB59_21
; %bb.1:
	v_cmp_lt_i64_e64 s2, s[14:15], 1
	s_and_b32 vcc_lo, exec_lo, s2
	s_cbranch_vccnz .LBB59_20
; %bb.2:
	s_load_b32 s2, s[0:1], 0xd4c
	v_cmp_gt_i64_e64 s11, 0x10000, s[14:15]
	v_lshlrev_b32_e32 v1, 1, v0
	s_add_nc_u64 s[4:5], s[6:7], s[12:13]
	v_cmp_gt_u64_e64 s18, 0x10000, s[14:15]
	v_mov_b32_e32 v5, 0
	s_mov_b32 s3, 0
	v_add_co_u32 v1, s16, s4, v1
	s_and_b32 s11, s11, exec_lo
	v_add_co_ci_u32_e64 v2, null, s5, 0, s16
	s_cselect_b32 s17, s15, 0
	s_cselect_b32 s16, s14, 0x10000
	s_wait_kmcnt 0x0
	s_and_b32 s2, s2, 0xffff
	s_and_b32 s11, s18, exec_lo
	v_add_co_u32 v6, s24, v0, s2
	s_cselect_b32 s19, s15, 0
	s_cselect_b32 s18, s14, 0x10000
	s_lshl_b32 s11, s2, 1
	v_lshlrev_b32_e32 v3, 1, v6
	s_mul_i32 s21, s2, 3
	v_add_co_u32 v10, s11, s11, v0
	v_add_co_u32 v7, s21, s21, v0
	s_delay_alu instid0(VALU_DEP_3)
	v_add_co_u32 v3, s4, s4, v3
	s_wait_alu 0xf1ff
	v_add_co_ci_u32_e64 v8, null, 0, 0, s21
	v_add_co_ci_u32_e64 v9, null, 0, 0, s24
	;; [unrolled: 1-line block ×4, first 2 shown]
	s_lshl_b32 s20, s2, 2
	s_mul_u64 s[22:23], s[2:3], 6
	s_mov_b32 s21, s3
	s_lshl_b32 s11, s2, 3
	s_mov_b64 s[24:25], 0
	s_branch .LBB59_4
.LBB59_3:                               ;   in Loop: Header=BB59_4 Depth=1
	s_wait_alu 0xfffe
	s_or_b32 exec_lo, exec_lo, s3
	s_add_nc_u64 s[24:25], s[24:25], s[20:21]
	v_add_co_u32 v1, vcc_lo, v1, s11
	s_wait_alu 0xfffe
	v_cmp_lt_i64_e64 s2, s[24:25], s[16:17]
	s_wait_alu 0xfffd
	v_add_co_ci_u32_e64 v2, null, 0, v2, vcc_lo
	v_add_co_u32 v3, vcc_lo, v3, s11
	s_wait_alu 0xfffd
	v_add_co_ci_u32_e64 v4, null, 0, v4, vcc_lo
	s_and_b32 vcc_lo, exec_lo, s2
	s_wait_alu 0xfffe
	s_cbranch_vccz .LBB59_20
.LBB59_4:                               ; =>This Inner Loop Header: Depth=1
	s_wait_alu 0xfffe
	v_add_co_u32 v12, s2, v0, s24
	s_wait_alu 0xf1ff
	v_add_co_ci_u32_e64 v13, null, 0, s25, s2
	v_mov_b32_e32 v16, 0
	s_delay_alu instid0(VALU_DEP_2)
	v_cmp_gt_u64_e32 vcc_lo, s[18:19], v[12:13]
	s_and_saveexec_b32 s2, vcc_lo
	s_cbranch_execz .LBB59_6
; %bb.5:                                ;   in Loop: Header=BB59_4 Depth=1
	global_load_u16 v12, v[1:2], off
	s_wait_loadcnt 0x0
	v_lshlrev_b32_e32 v16, 16, v12
.LBB59_6:                               ;   in Loop: Header=BB59_4 Depth=1
	s_wait_alu 0xfffe
	s_or_b32 exec_lo, exec_lo, s2
	v_add_co_u32 v12, s2, v6, s24
	s_wait_alu 0xf1ff
	v_add_co_ci_u32_e64 v13, null, s25, v9, s2
	v_mov_b32_e32 v15, 0
	s_delay_alu instid0(VALU_DEP_2)
	v_cmp_gt_u64_e64 s4, s[18:19], v[12:13]
	v_mov_b32_e32 v12, 0
	s_and_saveexec_b32 s2, s4
	s_cbranch_execz .LBB59_8
; %bb.7:                                ;   in Loop: Header=BB59_4 Depth=1
	global_load_u16 v13, v[3:4], off
	s_wait_loadcnt 0x0
	v_lshlrev_b32_e32 v15, 16, v13
.LBB59_8:                               ;   in Loop: Header=BB59_4 Depth=1
	s_wait_alu 0xfffe
	s_or_b32 exec_lo, exec_lo, s2
	v_add_co_u32 v13, s2, v10, s24
	s_wait_alu 0xf1ff
	v_add_co_ci_u32_e64 v14, null, s25, v11, s2
	s_delay_alu instid0(VALU_DEP_1)
	v_cmp_gt_u64_e64 s3, s[18:19], v[13:14]
	s_and_saveexec_b32 s5, s3
	s_cbranch_execz .LBB59_10
; %bb.9:                                ;   in Loop: Header=BB59_4 Depth=1
	v_add_co_u32 v12, s2, v1, s20
	s_wait_alu 0xf1ff
	v_add_co_ci_u32_e64 v13, null, 0, v2, s2
	global_load_u16 v12, v[12:13], off
	s_wait_loadcnt 0x0
	v_lshlrev_b32_e32 v12, 16, v12
.LBB59_10:                              ;   in Loop: Header=BB59_4 Depth=1
	s_wait_alu 0xfffe
	s_or_b32 exec_lo, exec_lo, s5
	v_add_co_u32 v13, s2, v7, s24
	s_wait_alu 0xf1ff
	v_add_co_ci_u32_e64 v14, null, s25, v8, s2
	s_delay_alu instid0(VALU_DEP_1)
	v_cmp_gt_u64_e64 s2, s[18:19], v[13:14]
	v_mov_b32_e32 v13, 0
	s_and_saveexec_b32 s26, s2
	s_cbranch_execz .LBB59_12
; %bb.11:                               ;   in Loop: Header=BB59_4 Depth=1
	v_add_co_u32 v13, s5, v1, s22
	s_wait_alu 0xf1ff
	v_add_co_ci_u32_e64 v14, null, s23, v2, s5
	global_load_u16 v13, v[13:14], off
	s_wait_loadcnt 0x0
	v_lshlrev_b32_e32 v13, 16, v13
.LBB59_12:                              ;   in Loop: Header=BB59_4 Depth=1
	s_or_b32 exec_lo, exec_lo, s26
	global_load_u16 v14, v5, s[8:9]
	s_wait_loadcnt 0x0
	v_lshlrev_b32_e32 v14, 16, v14
	s_delay_alu instid0(VALU_DEP_1)
	v_mul_f32_e32 v14, s10, v14
	s_and_saveexec_b32 s5, vcc_lo
	s_cbranch_execnz .LBB59_16
; %bb.13:                               ;   in Loop: Header=BB59_4 Depth=1
	s_wait_alu 0xfffe
	s_or_b32 exec_lo, exec_lo, s5
	s_and_saveexec_b32 s5, s4
	s_cbranch_execnz .LBB59_17
.LBB59_14:                              ;   in Loop: Header=BB59_4 Depth=1
	s_wait_alu 0xfffe
	s_or_b32 exec_lo, exec_lo, s5
	s_and_saveexec_b32 s4, s3
	s_cbranch_execnz .LBB59_18
.LBB59_15:                              ;   in Loop: Header=BB59_4 Depth=1
	s_wait_alu 0xfffe
	s_or_b32 exec_lo, exec_lo, s4
	s_and_saveexec_b32 s3, s2
	s_cbranch_execz .LBB59_3
	s_branch .LBB59_19
.LBB59_16:                              ;   in Loop: Header=BB59_4 Depth=1
	s_delay_alu instid0(VALU_DEP_1) | instskip(NEXT) | instid1(VALU_DEP_1)
	v_div_scale_f32 v17, null, v14, v14, v16
	v_rcp_f32_e32 v18, v17
	s_delay_alu instid0(TRANS32_DEP_1) | instskip(NEXT) | instid1(VALU_DEP_1)
	v_fma_f32 v19, -v17, v18, 1.0
	v_fmac_f32_e32 v18, v19, v18
	v_div_scale_f32 v19, vcc_lo, v16, v14, v16
	s_delay_alu instid0(VALU_DEP_1) | instskip(NEXT) | instid1(VALU_DEP_1)
	v_mul_f32_e32 v20, v19, v18
	v_fma_f32 v21, -v17, v20, v19
	s_delay_alu instid0(VALU_DEP_1) | instskip(NEXT) | instid1(VALU_DEP_1)
	v_fmac_f32_e32 v20, v21, v18
	v_fma_f32 v17, -v17, v20, v19
	s_wait_alu 0xfffd
	s_delay_alu instid0(VALU_DEP_1) | instskip(NEXT) | instid1(VALU_DEP_1)
	v_div_fmas_f32 v17, v17, v18, v20
	v_div_fixup_f32 v16, v17, v14, v16
	s_delay_alu instid0(VALU_DEP_1) | instskip(SKIP_1) | instid1(VALU_DEP_2)
	v_bfe_u32 v17, v16, 16, 1
	v_cmp_o_f32_e32 vcc_lo, v16, v16
	v_add3_u32 v17, v16, v17, 0x7fff
	s_delay_alu instid0(VALU_DEP_1) | instskip(SKIP_1) | instid1(VALU_DEP_1)
	v_lshrrev_b32_e32 v17, 16, v17
	s_wait_alu 0xfffd
	v_cndmask_b32_e32 v16, 0x7fc0, v17, vcc_lo
	global_store_b16 v[1:2], v16, off
	s_wait_alu 0xfffe
	s_or_b32 exec_lo, exec_lo, s5
	s_and_saveexec_b32 s5, s4
	s_cbranch_execz .LBB59_14
.LBB59_17:                              ;   in Loop: Header=BB59_4 Depth=1
	v_div_scale_f32 v16, null, v14, v14, v15
	s_delay_alu instid0(VALU_DEP_1) | instskip(NEXT) | instid1(TRANS32_DEP_1)
	v_rcp_f32_e32 v17, v16
	v_fma_f32 v18, -v16, v17, 1.0
	s_delay_alu instid0(VALU_DEP_1) | instskip(SKIP_1) | instid1(VALU_DEP_1)
	v_fmac_f32_e32 v17, v18, v17
	v_div_scale_f32 v18, vcc_lo, v15, v14, v15
	v_mul_f32_e32 v19, v18, v17
	s_delay_alu instid0(VALU_DEP_1) | instskip(NEXT) | instid1(VALU_DEP_1)
	v_fma_f32 v20, -v16, v19, v18
	v_fmac_f32_e32 v19, v20, v17
	s_delay_alu instid0(VALU_DEP_1) | instskip(SKIP_1) | instid1(VALU_DEP_1)
	v_fma_f32 v16, -v16, v19, v18
	s_wait_alu 0xfffd
	v_div_fmas_f32 v16, v16, v17, v19
	s_delay_alu instid0(VALU_DEP_1) | instskip(NEXT) | instid1(VALU_DEP_1)
	v_div_fixup_f32 v15, v16, v14, v15
	v_bfe_u32 v16, v15, 16, 1
	v_cmp_o_f32_e32 vcc_lo, v15, v15
	s_delay_alu instid0(VALU_DEP_2) | instskip(NEXT) | instid1(VALU_DEP_1)
	v_add3_u32 v16, v15, v16, 0x7fff
	v_lshrrev_b32_e32 v16, 16, v16
	s_wait_alu 0xfffd
	s_delay_alu instid0(VALU_DEP_1)
	v_cndmask_b32_e32 v15, 0x7fc0, v16, vcc_lo
	global_store_b16 v[3:4], v15, off
	s_wait_alu 0xfffe
	s_or_b32 exec_lo, exec_lo, s5
	s_and_saveexec_b32 s4, s3
	s_cbranch_execz .LBB59_15
.LBB59_18:                              ;   in Loop: Header=BB59_4 Depth=1
	v_div_scale_f32 v15, null, v14, v14, v12
	v_div_scale_f32 v18, vcc_lo, v12, v14, v12
	s_delay_alu instid0(VALU_DEP_2) | instskip(NEXT) | instid1(TRANS32_DEP_1)
	v_rcp_f32_e32 v16, v15
	v_fma_f32 v17, -v15, v16, 1.0
	s_delay_alu instid0(VALU_DEP_1) | instskip(NEXT) | instid1(VALU_DEP_1)
	v_fmac_f32_e32 v16, v17, v16
	v_mul_f32_e32 v17, v18, v16
	s_delay_alu instid0(VALU_DEP_1) | instskip(NEXT) | instid1(VALU_DEP_1)
	v_fma_f32 v19, -v15, v17, v18
	v_fmac_f32_e32 v17, v19, v16
	s_delay_alu instid0(VALU_DEP_1) | instskip(SKIP_1) | instid1(VALU_DEP_1)
	v_fma_f32 v15, -v15, v17, v18
	s_wait_alu 0xfffd
	v_div_fmas_f32 v15, v15, v16, v17
	s_delay_alu instid0(VALU_DEP_1) | instskip(NEXT) | instid1(VALU_DEP_1)
	v_div_fixup_f32 v12, v15, v14, v12
	v_bfe_u32 v15, v12, 16, 1
	v_cmp_o_f32_e32 vcc_lo, v12, v12
	s_delay_alu instid0(VALU_DEP_2) | instskip(NEXT) | instid1(VALU_DEP_1)
	v_add3_u32 v15, v12, v15, 0x7fff
	v_lshrrev_b32_e32 v15, 16, v15
	s_wait_alu 0xfffd
	s_delay_alu instid0(VALU_DEP_1)
	v_cndmask_b32_e32 v12, 0x7fc0, v15, vcc_lo
	v_add_co_u32 v15, vcc_lo, v1, s20
	s_wait_alu 0xfffd
	v_add_co_ci_u32_e64 v16, null, 0, v2, vcc_lo
	global_store_b16 v[15:16], v12, off
	s_wait_alu 0xfffe
	s_or_b32 exec_lo, exec_lo, s4
	s_and_saveexec_b32 s3, s2
	s_cbranch_execz .LBB59_3
.LBB59_19:                              ;   in Loop: Header=BB59_4 Depth=1
	v_div_scale_f32 v12, null, v14, v14, v13
	v_div_scale_f32 v17, vcc_lo, v13, v14, v13
	s_delay_alu instid0(VALU_DEP_2) | instskip(NEXT) | instid1(TRANS32_DEP_1)
	v_rcp_f32_e32 v15, v12
	v_fma_f32 v16, -v12, v15, 1.0
	s_delay_alu instid0(VALU_DEP_1) | instskip(NEXT) | instid1(VALU_DEP_1)
	v_fmac_f32_e32 v15, v16, v15
	v_mul_f32_e32 v16, v17, v15
	s_delay_alu instid0(VALU_DEP_1) | instskip(NEXT) | instid1(VALU_DEP_1)
	v_fma_f32 v18, -v12, v16, v17
	v_fmac_f32_e32 v16, v18, v15
	s_delay_alu instid0(VALU_DEP_1) | instskip(SKIP_1) | instid1(VALU_DEP_1)
	v_fma_f32 v12, -v12, v16, v17
	s_wait_alu 0xfffd
	v_div_fmas_f32 v12, v12, v15, v16
	s_delay_alu instid0(VALU_DEP_1) | instskip(NEXT) | instid1(VALU_DEP_1)
	v_div_fixup_f32 v12, v12, v14, v13
	v_bfe_u32 v13, v12, 16, 1
	v_cmp_o_f32_e32 vcc_lo, v12, v12
	s_delay_alu instid0(VALU_DEP_2) | instskip(NEXT) | instid1(VALU_DEP_1)
	v_add3_u32 v13, v12, v13, 0x7fff
	v_lshrrev_b32_e32 v13, 16, v13
	s_wait_alu 0xfffd
	s_delay_alu instid0(VALU_DEP_1)
	v_cndmask_b32_e32 v14, 0x7fc0, v13, vcc_lo
	v_add_co_u32 v12, vcc_lo, v1, s22
	s_wait_alu 0xfffd
	v_add_co_ci_u32_e64 v13, null, s23, v2, vcc_lo
	global_store_b16 v[12:13], v14, off
	s_branch .LBB59_3
.LBB59_20:
	s_cbranch_execz .LBB59_22
	s_branch .LBB59_25
.LBB59_21:
.LBB59_22:
	v_cmp_gt_i64_e64 s2, 0x10000, s[14:15]
	v_dual_mov_b32 v2, 0 :: v_dual_lshlrev_b32 v1, 2, v0
	s_mov_b32 s11, 0
	s_and_b32 s2, s2, exec_lo
	s_cselect_b32 s5, s15, 0
	s_cselect_b32 s4, s14, 0x10000
	s_mov_b32 s2, exec_lo
	s_wait_alu 0xfffe
	v_cmpx_gt_i64_e64 s[4:5], v[1:2]
	s_cbranch_execz .LBB59_25
; %bb.23:
	s_load_b32 s2, s[0:1], 0xd4c
	v_lshlrev_b32_e32 v3, 3, v0
	s_add_nc_u64 s[0:1], s[6:7], s[12:13]
	v_mov_b32_e32 v1, v2
	s_delay_alu instid0(VALU_DEP_2) | instskip(SKIP_4) | instid1(SALU_CYCLE_1)
	v_add_co_u32 v3, s0, s0, v3
	s_wait_alu 0xf1ff
	v_add_co_ci_u32_e64 v4, null, s1, 0, s0
	s_wait_kmcnt 0x0
	s_and_b32 s6, s2, 0xffff
	s_lshl_b32 s7, s6, 3
.LBB59_24:                              ; =>This Inner Loop Header: Depth=1
	global_load_u16 v9, v2, s[8:9]
	global_load_b64 v[5:6], v[3:4], off
	v_add_co_u32 v0, vcc_lo, v0, s6
	s_wait_alu 0xfffd
	v_add_co_ci_u32_e64 v1, null, 0, v1, vcc_lo
	s_delay_alu instid0(VALU_DEP_1) | instskip(NEXT) | instid1(VALU_DEP_1)
	v_lshlrev_b64_e32 v[7:8], 2, v[0:1]
	v_cmp_le_i64_e64 s0, s[4:5], v[7:8]
	s_or_b32 s11, s0, s11
	s_wait_loadcnt 0x1
	v_lshlrev_b32_e32 v7, 16, v9
	s_wait_loadcnt 0x0
	v_and_b32_e32 v8, 0xffff0000, v5
	v_lshlrev_b32_e32 v9, 16, v5
	v_alignbit_b32 v5, v6, v5, 16
	v_mul_f32_e32 v7, s10, v7
	s_delay_alu instid0(VALU_DEP_2) | instskip(NEXT) | instid1(VALU_DEP_2)
	v_and_b32_e32 v5, 0xffff0000, v5
	v_div_scale_f32 v12, null, v7, v7, v8
	v_div_scale_f32 v13, s1, v8, v7, v8
	s_delay_alu instid0(VALU_DEP_3) | instskip(NEXT) | instid1(VALU_DEP_3)
	v_div_scale_f32 v14, null, v7, v7, v5
	v_rcp_f32_e32 v19, v12
	s_delay_alu instid0(VALU_DEP_1) | instskip(NEXT) | instid1(TRANS32_DEP_2)
	v_rcp_f32_e32 v20, v14
	v_fma_f32 v23, -v12, v19, 1.0
	v_and_b32_e32 v6, 0xffff0000, v6
	s_delay_alu instid0(TRANS32_DEP_1) | instskip(NEXT) | instid1(VALU_DEP_3)
	v_fma_f32 v24, -v14, v20, 1.0
	v_fmac_f32_e32 v19, v23, v19
	s_delay_alu instid0(VALU_DEP_3) | instskip(NEXT) | instid1(VALU_DEP_3)
	v_div_scale_f32 v16, null, v7, v7, v6
	v_fmac_f32_e32 v20, v24, v20
	v_div_scale_f32 v10, null, v7, v7, v9
	s_delay_alu instid0(VALU_DEP_3) | instskip(SKIP_1) | instid1(VALU_DEP_2)
	v_rcp_f32_e32 v21, v16
	v_div_scale_f32 v11, vcc_lo, v9, v7, v9
	v_rcp_f32_e32 v18, v10
	v_div_scale_f32 v17, s3, v6, v7, v6
	s_delay_alu instid0(TRANS32_DEP_2) | instskip(NEXT) | instid1(TRANS32_DEP_1)
	v_fma_f32 v25, -v16, v21, 1.0
	v_fma_f32 v22, -v10, v18, 1.0
	s_delay_alu instid0(VALU_DEP_1) | instskip(NEXT) | instid1(VALU_DEP_1)
	v_fmac_f32_e32 v18, v22, v18
	v_mul_f32_e32 v22, v11, v18
	v_div_scale_f32 v15, s2, v5, v7, v5
	v_fmac_f32_e32 v21, v25, v21
	s_delay_alu instid0(VALU_DEP_3) | instskip(NEXT) | instid1(VALU_DEP_3)
	v_fma_f32 v26, -v10, v22, v11
	v_dual_mul_f32 v23, v13, v19 :: v_dual_mul_f32 v24, v15, v20
	s_delay_alu instid0(VALU_DEP_2) | instskip(NEXT) | instid1(VALU_DEP_2)
	v_fmac_f32_e32 v22, v26, v18
	v_fma_f32 v27, -v12, v23, v13
	s_delay_alu instid0(VALU_DEP_3) | instskip(SKIP_1) | instid1(VALU_DEP_4)
	v_fma_f32 v28, -v14, v24, v15
	v_mul_f32_e32 v25, v17, v21
	v_fma_f32 v10, -v10, v22, v11
	s_delay_alu instid0(VALU_DEP_3) | instskip(NEXT) | instid1(VALU_DEP_3)
	v_dual_fmac_f32 v23, v27, v19 :: v_dual_fmac_f32 v24, v28, v20
	v_fma_f32 v29, -v16, v25, v17
	s_wait_alu 0xfffd
	s_delay_alu instid0(VALU_DEP_3) | instskip(NEXT) | instid1(VALU_DEP_3)
	v_div_fmas_f32 v10, v10, v18, v22
	v_fma_f32 v11, -v12, v23, v13
	v_fma_f32 v12, -v14, v24, v15
	v_fmac_f32_e32 v25, v29, v21
	s_mov_b32 vcc_lo, s1
	v_div_fixup_f32 v9, v10, v7, v9
	s_wait_alu 0xfffe
	v_div_fmas_f32 v11, v11, v19, v23
	s_mov_b32 vcc_lo, s2
	v_fma_f32 v13, -v16, v25, v17
	s_wait_alu 0xfffe
	v_div_fmas_f32 v12, v12, v20, v24
	s_mov_b32 vcc_lo, s3
	v_div_fixup_f32 v8, v11, v7, v8
	v_bfe_u32 v11, v9, 16, 1
	s_wait_alu 0xfffe
	v_div_fmas_f32 v10, v13, v21, v25
	v_div_fixup_f32 v5, v12, v7, v5
	v_cmp_o_f32_e32 vcc_lo, v9, v9
	v_cmp_o_f32_e64 s1, v8, v8
	v_add3_u32 v11, v9, v11, 0x7fff
	v_div_fixup_f32 v6, v10, v7, v6
	v_bfe_u32 v7, v8, 16, 1
	v_bfe_u32 v10, v5, 16, 1
	v_cmp_o_f32_e64 s2, v5, v5
	v_lshrrev_b32_e32 v11, 16, v11
	v_bfe_u32 v12, v6, 16, 1
	v_add3_u32 v7, v8, v7, 0x7fff
	v_add3_u32 v10, v5, v10, 0x7fff
	s_wait_alu 0xfffd
	v_cndmask_b32_e32 v5, 0x7fc0, v11, vcc_lo
	v_add3_u32 v9, v6, v12, 0x7fff
	v_and_b32_e32 v7, 0xffff0000, v7
	v_lshrrev_b32_e32 v8, 16, v10
	v_cmp_o_f32_e32 vcc_lo, v6, v6
	s_delay_alu instid0(VALU_DEP_4)
	v_and_b32_e32 v9, 0xffff0000, v9
	s_wait_alu 0xf1ff
	v_cndmask_b32_e64 v6, 0x7fc00000, v7, s1
	v_cndmask_b32_e64 v7, 0x7fc0, v8, s2
	s_wait_alu 0xfffd
	v_cndmask_b32_e32 v8, 0x7fc00000, v9, vcc_lo
	s_delay_alu instid0(VALU_DEP_3) | instskip(NEXT) | instid1(VALU_DEP_2)
	v_or_b32_e32 v5, v5, v6
	v_or3_b32 v6, 0, v7, v8
	s_delay_alu instid0(VALU_DEP_2)
	v_or3_b32 v5, v5, 0, 0
	global_store_b64 v[3:4], v[5:6], off
	v_add_co_u32 v3, vcc_lo, v3, s7
	s_wait_alu 0xfffd
	v_add_co_ci_u32_e64 v4, null, 0, v4, vcc_lo
	s_and_not1_b32 exec_lo, exec_lo, s11
	s_cbranch_execnz .LBB59_24
.LBB59_25:
	s_endpgm
	.section	.rodata,"a",@progbits
	.p2align	6, 0x0
	.amdhsa_kernel _ZN2at6native12_GLOBAL__N_125multi_tensor_apply_kernelINS1_18TensorListMetadataILi1EEENS1_27BinaryOpScalarTensorFunctorIN3c108BFloat16ELi1ELi1ELi0EEEJSt7dividesIfEPS7_fEEEvT_T0_DpT1_
		.amdhsa_group_segment_fixed_size 0
		.amdhsa_private_segment_fixed_size 0
		.amdhsa_kernarg_size 3648
		.amdhsa_user_sgpr_count 2
		.amdhsa_user_sgpr_dispatch_ptr 0
		.amdhsa_user_sgpr_queue_ptr 0
		.amdhsa_user_sgpr_kernarg_segment_ptr 1
		.amdhsa_user_sgpr_dispatch_id 0
		.amdhsa_user_sgpr_private_segment_size 0
		.amdhsa_wavefront_size32 1
		.amdhsa_uses_dynamic_stack 0
		.amdhsa_enable_private_segment 0
		.amdhsa_system_sgpr_workgroup_id_x 1
		.amdhsa_system_sgpr_workgroup_id_y 0
		.amdhsa_system_sgpr_workgroup_id_z 0
		.amdhsa_system_sgpr_workgroup_info 0
		.amdhsa_system_vgpr_workitem_id 0
		.amdhsa_next_free_vgpr 30
		.amdhsa_next_free_sgpr 27
		.amdhsa_reserve_vcc 1
		.amdhsa_float_round_mode_32 0
		.amdhsa_float_round_mode_16_64 0
		.amdhsa_float_denorm_mode_32 3
		.amdhsa_float_denorm_mode_16_64 3
		.amdhsa_fp16_overflow 0
		.amdhsa_workgroup_processor_mode 1
		.amdhsa_memory_ordered 1
		.amdhsa_forward_progress 1
		.amdhsa_inst_pref_size 19
		.amdhsa_round_robin_scheduling 0
		.amdhsa_exception_fp_ieee_invalid_op 0
		.amdhsa_exception_fp_denorm_src 0
		.amdhsa_exception_fp_ieee_div_zero 0
		.amdhsa_exception_fp_ieee_overflow 0
		.amdhsa_exception_fp_ieee_underflow 0
		.amdhsa_exception_fp_ieee_inexact 0
		.amdhsa_exception_int_div_zero 0
	.end_amdhsa_kernel
	.section	.text._ZN2at6native12_GLOBAL__N_125multi_tensor_apply_kernelINS1_18TensorListMetadataILi1EEENS1_27BinaryOpScalarTensorFunctorIN3c108BFloat16ELi1ELi1ELi0EEEJSt7dividesIfEPS7_fEEEvT_T0_DpT1_,"axG",@progbits,_ZN2at6native12_GLOBAL__N_125multi_tensor_apply_kernelINS1_18TensorListMetadataILi1EEENS1_27BinaryOpScalarTensorFunctorIN3c108BFloat16ELi1ELi1ELi0EEEJSt7dividesIfEPS7_fEEEvT_T0_DpT1_,comdat
.Lfunc_end59:
	.size	_ZN2at6native12_GLOBAL__N_125multi_tensor_apply_kernelINS1_18TensorListMetadataILi1EEENS1_27BinaryOpScalarTensorFunctorIN3c108BFloat16ELi1ELi1ELi0EEEJSt7dividesIfEPS7_fEEEvT_T0_DpT1_, .Lfunc_end59-_ZN2at6native12_GLOBAL__N_125multi_tensor_apply_kernelINS1_18TensorListMetadataILi1EEENS1_27BinaryOpScalarTensorFunctorIN3c108BFloat16ELi1ELi1ELi0EEEJSt7dividesIfEPS7_fEEEvT_T0_DpT1_
                                        ; -- End function
	.set _ZN2at6native12_GLOBAL__N_125multi_tensor_apply_kernelINS1_18TensorListMetadataILi1EEENS1_27BinaryOpScalarTensorFunctorIN3c108BFloat16ELi1ELi1ELi0EEEJSt7dividesIfEPS7_fEEEvT_T0_DpT1_.num_vgpr, 30
	.set _ZN2at6native12_GLOBAL__N_125multi_tensor_apply_kernelINS1_18TensorListMetadataILi1EEENS1_27BinaryOpScalarTensorFunctorIN3c108BFloat16ELi1ELi1ELi0EEEJSt7dividesIfEPS7_fEEEvT_T0_DpT1_.num_agpr, 0
	.set _ZN2at6native12_GLOBAL__N_125multi_tensor_apply_kernelINS1_18TensorListMetadataILi1EEENS1_27BinaryOpScalarTensorFunctorIN3c108BFloat16ELi1ELi1ELi0EEEJSt7dividesIfEPS7_fEEEvT_T0_DpT1_.numbered_sgpr, 27
	.set _ZN2at6native12_GLOBAL__N_125multi_tensor_apply_kernelINS1_18TensorListMetadataILi1EEENS1_27BinaryOpScalarTensorFunctorIN3c108BFloat16ELi1ELi1ELi0EEEJSt7dividesIfEPS7_fEEEvT_T0_DpT1_.num_named_barrier, 0
	.set _ZN2at6native12_GLOBAL__N_125multi_tensor_apply_kernelINS1_18TensorListMetadataILi1EEENS1_27BinaryOpScalarTensorFunctorIN3c108BFloat16ELi1ELi1ELi0EEEJSt7dividesIfEPS7_fEEEvT_T0_DpT1_.private_seg_size, 0
	.set _ZN2at6native12_GLOBAL__N_125multi_tensor_apply_kernelINS1_18TensorListMetadataILi1EEENS1_27BinaryOpScalarTensorFunctorIN3c108BFloat16ELi1ELi1ELi0EEEJSt7dividesIfEPS7_fEEEvT_T0_DpT1_.uses_vcc, 1
	.set _ZN2at6native12_GLOBAL__N_125multi_tensor_apply_kernelINS1_18TensorListMetadataILi1EEENS1_27BinaryOpScalarTensorFunctorIN3c108BFloat16ELi1ELi1ELi0EEEJSt7dividesIfEPS7_fEEEvT_T0_DpT1_.uses_flat_scratch, 0
	.set _ZN2at6native12_GLOBAL__N_125multi_tensor_apply_kernelINS1_18TensorListMetadataILi1EEENS1_27BinaryOpScalarTensorFunctorIN3c108BFloat16ELi1ELi1ELi0EEEJSt7dividesIfEPS7_fEEEvT_T0_DpT1_.has_dyn_sized_stack, 0
	.set _ZN2at6native12_GLOBAL__N_125multi_tensor_apply_kernelINS1_18TensorListMetadataILi1EEENS1_27BinaryOpScalarTensorFunctorIN3c108BFloat16ELi1ELi1ELi0EEEJSt7dividesIfEPS7_fEEEvT_T0_DpT1_.has_recursion, 0
	.set _ZN2at6native12_GLOBAL__N_125multi_tensor_apply_kernelINS1_18TensorListMetadataILi1EEENS1_27BinaryOpScalarTensorFunctorIN3c108BFloat16ELi1ELi1ELi0EEEJSt7dividesIfEPS7_fEEEvT_T0_DpT1_.has_indirect_call, 0
	.section	.AMDGPU.csdata,"",@progbits
; Kernel info:
; codeLenInByte = 2432
; TotalNumSgprs: 29
; NumVgprs: 30
; ScratchSize: 0
; MemoryBound: 0
; FloatMode: 240
; IeeeMode: 1
; LDSByteSize: 0 bytes/workgroup (compile time only)
; SGPRBlocks: 0
; VGPRBlocks: 3
; NumSGPRsForWavesPerEU: 29
; NumVGPRsForWavesPerEU: 30
; Occupancy: 16
; WaveLimiterHint : 0
; COMPUTE_PGM_RSRC2:SCRATCH_EN: 0
; COMPUTE_PGM_RSRC2:USER_SGPR: 2
; COMPUTE_PGM_RSRC2:TRAP_HANDLER: 0
; COMPUTE_PGM_RSRC2:TGID_X_EN: 1
; COMPUTE_PGM_RSRC2:TGID_Y_EN: 0
; COMPUTE_PGM_RSRC2:TGID_Z_EN: 0
; COMPUTE_PGM_RSRC2:TIDIG_COMP_CNT: 0
	.section	.text._ZN2at6native12_GLOBAL__N_125multi_tensor_apply_kernelINS1_18TensorListMetadataILi2EEENS1_27BinaryOpScalarTensorFunctorIhLi2ELi1ELi1EEEJSt7dividesIhEPhhEEEvT_T0_DpT1_,"axG",@progbits,_ZN2at6native12_GLOBAL__N_125multi_tensor_apply_kernelINS1_18TensorListMetadataILi2EEENS1_27BinaryOpScalarTensorFunctorIhLi2ELi1ELi1EEEJSt7dividesIhEPhhEEEvT_T0_DpT1_,comdat
	.globl	_ZN2at6native12_GLOBAL__N_125multi_tensor_apply_kernelINS1_18TensorListMetadataILi2EEENS1_27BinaryOpScalarTensorFunctorIhLi2ELi1ELi1EEEJSt7dividesIhEPhhEEEvT_T0_DpT1_ ; -- Begin function _ZN2at6native12_GLOBAL__N_125multi_tensor_apply_kernelINS1_18TensorListMetadataILi2EEENS1_27BinaryOpScalarTensorFunctorIhLi2ELi1ELi1EEEJSt7dividesIhEPhhEEEvT_T0_DpT1_
	.p2align	8
	.type	_ZN2at6native12_GLOBAL__N_125multi_tensor_apply_kernelINS1_18TensorListMetadataILi2EEENS1_27BinaryOpScalarTensorFunctorIhLi2ELi1ELi1EEEJSt7dividesIhEPhhEEEvT_T0_DpT1_,@function
_ZN2at6native12_GLOBAL__N_125multi_tensor_apply_kernelINS1_18TensorListMetadataILi2EEENS1_27BinaryOpScalarTensorFunctorIhLi2ELi1ELi1EEEJSt7dividesIhEPhhEEEvT_T0_DpT1_: ; @_ZN2at6native12_GLOBAL__N_125multi_tensor_apply_kernelINS1_18TensorListMetadataILi2EEENS1_27BinaryOpScalarTensorFunctorIhLi2ELi1ELi1EEEJSt7dividesIhEPhhEEEvT_T0_DpT1_
; %bb.0:
	s_mov_b32 s2, ttmp9
	s_mov_b32 s3, 0
	s_delay_alu instid0(SALU_CYCLE_1) | instskip(SKIP_1) | instid1(SALU_CYCLE_1)
	s_mul_u64 s[4:5], s[2:3], 3
	s_add_nc_u64 s[2:3], s[0:1], s[2:3]
	s_add_nc_u64 s[2:3], s[2:3], s[4:5]
	s_clause 0x1
	s_load_b32 s2, s[2:3], 0x740
	s_load_u8 s3, s[0:1], ttmp9 offset:0x600
	s_wait_kmcnt 0x0
	s_lshl_b32 s3, s3, 3
	s_clause 0x3
	s_load_b64 s[12:13], s[0:1], s3 offset:0x400
	s_load_b64 s[8:9], s[0:1], s3 offset:0x0
	;; [unrolled: 1-line block ×3, first 2 shown]
	s_load_b96 s[4:6], s[0:1], 0xc50
	s_ashr_i32 s3, s2, 31
	s_delay_alu instid0(SALU_CYCLE_1) | instskip(SKIP_4) | instid1(SALU_CYCLE_1)
	s_lshl_b64 s[16:17], s[2:3], 16
	s_wait_kmcnt 0x0
	s_sub_nc_u64 s[14:15], s[12:13], s[16:17]
	s_add_nc_u64 s[2:3], s[8:9], s[16:17]
	s_or_b32 s3, s12, s10
	s_or_b32 s2, s3, s2
	s_delay_alu instid0(SALU_CYCLE_1) | instskip(NEXT) | instid1(SALU_CYCLE_1)
	s_and_b32 s2, s2, 3
	s_cmp_eq_u32 s2, 0
	s_mov_b32 s2, -1
	s_cbranch_scc0 .LBB60_5
; %bb.1:
	v_cmp_gt_i64_e64 s2, 0x10000, s[14:15]
	v_dual_mov_b32 v3, 0 :: v_dual_lshlrev_b32 v2, 2, v0
	s_mov_b32 s3, exec_lo
	s_and_b32 s2, s2, exec_lo
	s_cselect_b32 s13, s15, 0
	s_cselect_b32 s12, s14, 0x10000
	s_delay_alu instid0(SALU_CYCLE_1)
	v_cmpx_gt_i64_e64 s[12:13], v[2:3]
	s_cbranch_execz .LBB60_4
; %bb.2:
	s_load_b32 s2, s[0:1], 0xc6c
	v_mov_b32_e32 v1, v3
	v_add_co_u32 v4, s7, s16, v2
	s_delay_alu instid0(VALU_DEP_1) | instskip(NEXT) | instid1(VALU_DEP_3)
	v_add_co_ci_u32_e64 v5, null, s17, 0, s7
	v_mov_b32_e32 v2, v1
	v_mov_b32_e32 v1, v0
	s_mov_b32 s18, 0
	s_wait_kmcnt 0x0
	s_and_b32 s7, s2, 0xffff
	s_wait_alu 0xfffe
	s_lshl_b32 s19, s7, 2
.LBB60_3:                               ; =>This Inner Loop Header: Depth=1
	v_add_co_u32 v6, vcc_lo, s8, v4
	s_wait_alu 0xfffd
	v_add_co_ci_u32_e64 v7, null, s9, v5, vcc_lo
	v_add_co_u32 v1, vcc_lo, v1, s7
	global_load_u8 v8, v3, s[4:5]
	global_load_b32 v6, v[6:7], off
	s_wait_alu 0xfffd
	v_add_co_ci_u32_e64 v2, null, 0, v2, vcc_lo
	s_wait_loadcnt 0x1
	v_mul_lo_u32 v7, v8, s6
	s_wait_loadcnt 0x0
	v_cvt_f32_ubyte0_e32 v8, v6
	v_cvt_f32_ubyte1_e32 v9, v6
	v_cvt_f32_ubyte2_e32 v10, v6
	v_cvt_f32_ubyte3_e32 v6, v6
	v_cvt_f32_ubyte0_e32 v7, v7
	s_delay_alu instid0(VALU_DEP_1) | instskip(NEXT) | instid1(TRANS32_DEP_1)
	v_rcp_iflag_f32_e32 v11, v7
	v_mul_f32_e32 v12, v8, v11
	v_mul_f32_e32 v13, v9, v11
	;; [unrolled: 1-line block ×4, first 2 shown]
	s_delay_alu instid0(VALU_DEP_4) | instskip(NEXT) | instid1(VALU_DEP_4)
	v_trunc_f32_e32 v12, v12
	v_trunc_f32_e32 v13, v13
	s_delay_alu instid0(VALU_DEP_4) | instskip(NEXT) | instid1(VALU_DEP_4)
	v_trunc_f32_e32 v14, v14
	v_trunc_f32_e32 v11, v11
	s_delay_alu instid0(VALU_DEP_4)
	v_fma_f32 v8, -v12, v7, v8
	v_cvt_u32_f32_e32 v12, v12
	v_fma_f32 v9, -v13, v7, v9
	v_cvt_u32_f32_e32 v13, v13
	v_fma_f32 v6, -v11, v7, v6
	v_cmp_ge_f32_e64 vcc_lo, |v8|, v7
	v_fma_f32 v10, -v14, v7, v10
	v_cvt_u32_f32_e32 v11, v11
	v_cvt_u32_f32_e32 v14, v14
	s_wait_alu 0xfffd
	v_add_co_ci_u32_e64 v8, null, 0, v12, vcc_lo
	v_cmp_ge_f32_e64 vcc_lo, |v9|, v7
	s_wait_alu 0xfffd
	s_delay_alu instid0(VALU_DEP_1) | instskip(SKIP_2) | instid1(VALU_DEP_1)
	v_add_co_ci_u32_e64 v9, null, 0, v13, vcc_lo
	v_cmp_ge_f32_e64 vcc_lo, |v6|, v7
	s_wait_alu 0xfffd
	v_add_co_ci_u32_e64 v6, null, 0, v11, vcc_lo
	v_cmp_ge_f32_e64 vcc_lo, |v10|, v7
	v_lshlrev_b16 v10, 8, v9
	v_and_b32_e32 v11, 0xff, v8
	s_delay_alu instid0(VALU_DEP_4)
	v_lshlrev_b16 v12, 8, v6
	v_lshlrev_b64_e32 v[8:9], 2, v[1:2]
	s_wait_alu 0xfffd
	v_add_co_ci_u32_e64 v7, null, 0, v14, vcc_lo
	v_or_b32_e32 v10, v11, v10
	v_add_co_u32 v6, vcc_lo, s10, v4
	s_delay_alu instid0(VALU_DEP_3) | instskip(SKIP_1) | instid1(VALU_DEP_4)
	v_and_b32_e32 v7, 0xff, v7
	v_add_co_u32 v4, s2, v4, s19
	v_and_b32_e32 v10, 0xffff, v10
	s_delay_alu instid0(VALU_DEP_3)
	v_or_b32_e32 v11, v7, v12
	s_wait_alu 0xfffd
	v_add_co_ci_u32_e64 v7, null, s11, v5, vcc_lo
	v_cmp_le_i64_e32 vcc_lo, s[12:13], v[8:9]
	s_wait_alu 0xf1ff
	v_add_co_ci_u32_e64 v5, null, 0, v5, s2
	v_lshlrev_b32_e32 v11, 16, v11
	s_or_b32 s18, vcc_lo, s18
	s_delay_alu instid0(VALU_DEP_1)
	v_or_b32_e32 v8, v10, v11
	global_store_b32 v[6:7], v8, off
	s_wait_alu 0xfffe
	s_and_not1_b32 exec_lo, exec_lo, s18
	s_cbranch_execnz .LBB60_3
.LBB60_4:
	s_or_b32 exec_lo, exec_lo, s3
	s_mov_b32 s2, 0
.LBB60_5:
	s_wait_alu 0xfffe
	s_and_not1_b32 vcc_lo, exec_lo, s2
	s_wait_alu 0xfffe
	s_cbranch_vccnz .LBB60_25
; %bb.6:
	v_cmp_lt_i64_e64 s2, s[14:15], 1
	s_and_b32 vcc_lo, exec_lo, s2
	s_wait_alu 0xfffe
	s_cbranch_vccnz .LBB60_25
; %bb.7:
	s_load_b32 s0, s[0:1], 0xc6c
	v_cmp_gt_i64_e64 s2, 0x10000, s[14:15]
	v_cmp_gt_u64_e64 s7, 0x10000, s[14:15]
	s_mov_b32 s1, 0
	v_add_co_u32 v16, s3, s16, v0
	s_wait_alu 0xf1ff
	v_add_co_ci_u32_e64 v17, null, s17, 0, s3
	s_and_b32 s2, s2, exec_lo
	s_cselect_b32 s13, s15, 0
	s_cselect_b32 s12, s14, 0x10000
	s_mov_b32 s3, s1
	v_add_co_u32 v2, vcc_lo, s8, v16
	s_wait_alu 0xfffd
	v_add_co_ci_u32_e64 v3, null, s9, v17, vcc_lo
	v_add_co_u32 v4, vcc_lo, s10, v16
	s_wait_alu 0xfffd
	v_add_co_ci_u32_e64 v5, null, s11, v17, vcc_lo
	s_wait_kmcnt 0x0
	s_and_b32 s20, s0, 0xffff
	s_and_b32 s0, s7, exec_lo
	s_mul_i32 s2, s20, 3
	s_cselect_b32 s15, s15, 0
	s_wait_alu 0xfffe
	s_add_nc_u64 s[18:19], s[16:17], s[2:3]
	s_cselect_b32 s14, s14, 0x10000
	s_lshl_b32 s0, s20, 1
	s_wait_alu 0xfffe
	v_add_co_u32 v8, s3, s18, v0
	s_wait_alu 0xf1ff
	v_add_co_ci_u32_e64 v9, null, s19, 0, s3
	s_add_nc_u64 s[16:17], s[16:17], s[0:1]
	v_add_co_u32 v6, vcc_lo, s8, v8
	s_wait_alu 0xfffe
	v_add_co_u32 v14, s3, s16, v0
	s_wait_alu 0xf1ff
	v_add_co_ci_u32_e64 v15, null, s17, 0, s3
	s_wait_alu 0xfffd
	v_add_co_ci_u32_e64 v7, null, s9, v9, vcc_lo
	v_add_co_u32 v8, vcc_lo, s10, v8
	s_wait_alu 0xfffd
	v_add_co_ci_u32_e64 v9, null, s11, v9, vcc_lo
	v_add_co_u32 v12, vcc_lo, s8, v14
	;; [unrolled: 3-line block ×4, first 2 shown]
	s_wait_alu 0xfffd
	v_add_co_ci_u32_e64 v21, null, 0, v17, vcc_lo
	v_add_co_u32 v16, s0, s0, v0
	s_delay_alu instid0(VALU_DEP_3)
	v_add_co_u32 v18, vcc_lo, s8, v20
	v_add_co_u32 v10, s2, s2, v0
	s_wait_alu 0xf1ff
	v_add_co_ci_u32_e64 v17, null, 0, 0, s0
	s_wait_alu 0xfffd
	v_add_co_ci_u32_e64 v19, null, s9, v21, vcc_lo
	v_add_co_u32 v20, vcc_lo, s10, v20
	v_add_co_u32 v22, s0, v0, s20
	v_dual_mov_b32 v1, 0 :: v_dual_mov_b32 v24, 0
	v_add_co_ci_u32_e64 v11, null, 0, 0, s2
	s_wait_alu 0xfffd
	v_add_co_ci_u32_e64 v21, null, s11, v21, vcc_lo
	s_wait_alu 0xf1ff
	v_add_co_ci_u32_e64 v23, null, 0, 0, s0
	s_lshl_b32 s8, s20, 2
	s_mov_b32 s9, s1
	s_mov_b64 s[10:11], 0
	s_branch .LBB60_9
.LBB60_8:                               ;   in Loop: Header=BB60_9 Depth=1
	s_wait_alu 0xfffe
	s_or_b32 exec_lo, exec_lo, s0
	v_lshlrev_b16 v26, 8, v28
	v_lshlrev_b16 v24, 8, v24
	s_add_nc_u64 s[10:11], s[10:11], s[8:9]
	s_wait_alu 0xfffe
	v_cmp_ge_i64_e64 s0, s[10:11], s[12:13]
	v_or_b32_e32 v25, v25, v26
	v_or_b32_e32 v24, v29, v24
	s_and_b32 vcc_lo, exec_lo, s0
	s_delay_alu instid0(VALU_DEP_2) | instskip(NEXT) | instid1(VALU_DEP_2)
	v_and_b32_e32 v25, 0xffff, v25
	v_lshlrev_b32_e32 v24, 16, v24
	s_delay_alu instid0(VALU_DEP_1)
	v_or_b32_e32 v24, v25, v24
	s_wait_alu 0xfffe
	s_cbranch_vccnz .LBB60_25
.LBB60_9:                               ; =>This Inner Loop Header: Depth=1
	s_wait_alu 0xfffe
	v_add_co_u32 v25, s0, v0, s10
	s_wait_alu 0xf1ff
	v_add_co_ci_u32_e64 v26, null, 0, s11, s0
	v_and_b32_e32 v24, 0xffffff00, v24
	s_delay_alu instid0(VALU_DEP_2)
	v_cmp_gt_u64_e32 vcc_lo, s[14:15], v[25:26]
	s_and_saveexec_b32 s1, vcc_lo
	s_cbranch_execz .LBB60_11
; %bb.10:                               ;   in Loop: Header=BB60_9 Depth=1
	v_add_co_u32 v25, s0, v2, s10
	s_wait_alu 0xf1ff
	v_add_co_ci_u32_e64 v26, null, s11, v3, s0
	global_load_u8 v25, v[25:26], off
	s_wait_loadcnt 0x0
	v_perm_b32 v24, v25, v24, 0x3020104
.LBB60_11:                              ;   in Loop: Header=BB60_9 Depth=1
	s_wait_alu 0xfffe
	s_or_b32 exec_lo, exec_lo, s1
	v_add_co_u32 v25, s0, v22, s10
	s_wait_alu 0xf1ff
	v_add_co_ci_u32_e64 v26, null, s11, v23, s0
	v_and_b32_e32 v24, 0xffff00ff, v24
	s_delay_alu instid0(VALU_DEP_2)
	v_cmp_gt_u64_e64 s0, s[14:15], v[25:26]
	s_and_saveexec_b32 s2, s0
	s_cbranch_execz .LBB60_13
; %bb.12:                               ;   in Loop: Header=BB60_9 Depth=1
	v_add_co_u32 v25, s1, v18, s10
	s_wait_alu 0xf1ff
	v_add_co_ci_u32_e64 v26, null, s11, v19, s1
	global_load_u8 v25, v[25:26], off
	s_wait_loadcnt 0x0
	v_perm_b32 v24, v24, v25, 0x7060004
.LBB60_13:                              ;   in Loop: Header=BB60_9 Depth=1
	s_wait_alu 0xfffe
	s_or_b32 exec_lo, exec_lo, s2
	v_add_co_u32 v25, s1, v16, s10
	s_wait_alu 0xf1ff
	v_add_co_ci_u32_e64 v26, null, s11, v17, s1
	v_and_b32_e32 v24, 0xff00ffff, v24
	s_delay_alu instid0(VALU_DEP_2)
	v_cmp_gt_u64_e64 s1, s[14:15], v[25:26]
	s_and_saveexec_b32 s3, s1
	;; [unrolled: 18-line block ×3, first 2 shown]
	s_cbranch_execz .LBB60_17
; %bb.16:                               ;   in Loop: Header=BB60_9 Depth=1
	v_add_co_u32 v25, s3, v6, s10
	s_wait_alu 0xf1ff
	v_add_co_ci_u32_e64 v26, null, s11, v7, s3
	global_load_u8 v25, v[25:26], off
	v_lshrrev_b32_e32 v26, 16, v24
	s_wait_loadcnt 0x0
	v_lshlrev_b16 v25, 8, v25
	s_delay_alu instid0(VALU_DEP_1) | instskip(NEXT) | instid1(VALU_DEP_1)
	v_or_b32_e32 v25, v26, v25
	v_lshlrev_b32_e32 v25, 16, v25
	s_delay_alu instid0(VALU_DEP_1)
	v_and_or_b32 v24, 0xffff, v24, v25
.LBB60_17:                              ;   in Loop: Header=BB60_9 Depth=1
	s_wait_alu 0xfffe
	s_or_b32 exec_lo, exec_lo, s7
	global_load_u8 v25, v1, s[4:5]
	s_wait_loadcnt 0x0
	v_mul_lo_u32 v25, v25, s6
	s_delay_alu instid0(VALU_DEP_1) | instskip(SKIP_1) | instid1(VALU_DEP_2)
	v_cvt_f32_ubyte0_e32 v26, v25
	v_cvt_f32_ubyte0_e32 v25, v24
	v_rcp_iflag_f32_e32 v27, v26
	s_delay_alu instid0(TRANS32_DEP_1) | instskip(NEXT) | instid1(VALU_DEP_1)
	v_mul_f32_e32 v28, v25, v27
	v_trunc_f32_e32 v28, v28
	s_delay_alu instid0(VALU_DEP_1) | instskip(SKIP_1) | instid1(VALU_DEP_2)
	v_fma_f32 v25, -v28, v26, v25
	v_cvt_u32_f32_e32 v28, v28
	v_cmp_ge_f32_e64 s3, |v25|, v26
	s_wait_alu 0xf1ff
	s_delay_alu instid0(VALU_DEP_1) | instskip(NEXT) | instid1(VALU_DEP_1)
	v_add_co_ci_u32_e64 v25, null, 0, v28, s3
	v_and_b32_e32 v25, 0xff, v25
	s_and_saveexec_b32 s3, vcc_lo
	s_cbranch_execz .LBB60_19
; %bb.18:                               ;   in Loop: Header=BB60_9 Depth=1
	v_add_co_u32 v28, vcc_lo, v4, s10
	s_wait_alu 0xfffd
	v_add_co_ci_u32_e64 v29, null, s11, v5, vcc_lo
	global_store_b8 v[28:29], v25, off
.LBB60_19:                              ;   in Loop: Header=BB60_9 Depth=1
	s_wait_alu 0xfffe
	s_or_b32 exec_lo, exec_lo, s3
	v_cvt_f32_ubyte1_e32 v28, v24
	s_delay_alu instid0(VALU_DEP_1) | instskip(NEXT) | instid1(VALU_DEP_1)
	v_mul_f32_e32 v29, v28, v27
	v_trunc_f32_e32 v29, v29
	s_delay_alu instid0(VALU_DEP_1) | instskip(SKIP_1) | instid1(VALU_DEP_2)
	v_fma_f32 v28, -v29, v26, v28
	v_cvt_u32_f32_e32 v29, v29
	v_cmp_ge_f32_e64 vcc_lo, |v28|, v26
	s_wait_alu 0xfffd
	s_delay_alu instid0(VALU_DEP_1) | instskip(NEXT) | instid1(VALU_DEP_1)
	v_add_co_ci_u32_e64 v28, null, 0, v29, vcc_lo
	v_and_b32_e32 v28, 0xff, v28
	s_and_saveexec_b32 s3, s0
	s_cbranch_execz .LBB60_21
; %bb.20:                               ;   in Loop: Header=BB60_9 Depth=1
	v_add_co_u32 v29, vcc_lo, v20, s10
	s_wait_alu 0xfffd
	v_add_co_ci_u32_e64 v30, null, s11, v21, vcc_lo
	global_store_b8 v[29:30], v28, off
.LBB60_21:                              ;   in Loop: Header=BB60_9 Depth=1
	s_wait_alu 0xfffe
	s_or_b32 exec_lo, exec_lo, s3
	v_cvt_f32_ubyte2_e32 v29, v24
	s_delay_alu instid0(VALU_DEP_1) | instskip(NEXT) | instid1(VALU_DEP_1)
	v_mul_f32_e32 v30, v29, v27
	v_trunc_f32_e32 v30, v30
	s_delay_alu instid0(VALU_DEP_1) | instskip(SKIP_1) | instid1(VALU_DEP_2)
	v_fma_f32 v29, -v30, v26, v29
	v_cvt_u32_f32_e32 v30, v30
	v_cmp_ge_f32_e64 vcc_lo, |v29|, v26
	s_wait_alu 0xfffd
	s_delay_alu instid0(VALU_DEP_1) | instskip(NEXT) | instid1(VALU_DEP_1)
	v_add_co_ci_u32_e64 v29, null, 0, v30, vcc_lo
	v_and_b32_e32 v29, 0xff, v29
	s_and_saveexec_b32 s0, s1
	s_cbranch_execz .LBB60_23
; %bb.22:                               ;   in Loop: Header=BB60_9 Depth=1
	v_add_co_u32 v30, vcc_lo, v14, s10
	s_wait_alu 0xfffd
	v_add_co_ci_u32_e64 v31, null, s11, v15, vcc_lo
	global_store_b8 v[30:31], v29, off
.LBB60_23:                              ;   in Loop: Header=BB60_9 Depth=1
	s_wait_alu 0xfffe
	s_or_b32 exec_lo, exec_lo, s0
	v_cvt_f32_ubyte3_e32 v24, v24
	s_delay_alu instid0(VALU_DEP_1) | instskip(NEXT) | instid1(VALU_DEP_1)
	v_mul_f32_e32 v27, v24, v27
	v_trunc_f32_e32 v27, v27
	s_delay_alu instid0(VALU_DEP_1) | instskip(SKIP_1) | instid1(VALU_DEP_2)
	v_fma_f32 v24, -v27, v26, v24
	v_cvt_u32_f32_e32 v27, v27
	v_cmp_ge_f32_e64 vcc_lo, |v24|, v26
	s_wait_alu 0xfffd
	s_delay_alu instid0(VALU_DEP_1) | instskip(NEXT) | instid1(VALU_DEP_1)
	v_add_co_ci_u32_e64 v24, null, 0, v27, vcc_lo
	v_and_b32_e32 v24, 0xff, v24
	s_and_saveexec_b32 s0, s2
	s_cbranch_execz .LBB60_8
; %bb.24:                               ;   in Loop: Header=BB60_9 Depth=1
	v_add_co_u32 v26, vcc_lo, v8, s10
	s_wait_alu 0xfffd
	v_add_co_ci_u32_e64 v27, null, s11, v9, vcc_lo
	global_store_b8 v[26:27], v24, off
	s_branch .LBB60_8
.LBB60_25:
	s_endpgm
	.section	.rodata,"a",@progbits
	.p2align	6, 0x0
	.amdhsa_kernel _ZN2at6native12_GLOBAL__N_125multi_tensor_apply_kernelINS1_18TensorListMetadataILi2EEENS1_27BinaryOpScalarTensorFunctorIhLi2ELi1ELi1EEEJSt7dividesIhEPhhEEEvT_T0_DpT1_
		.amdhsa_group_segment_fixed_size 0
		.amdhsa_private_segment_fixed_size 0
		.amdhsa_kernarg_size 3424
		.amdhsa_user_sgpr_count 2
		.amdhsa_user_sgpr_dispatch_ptr 0
		.amdhsa_user_sgpr_queue_ptr 0
		.amdhsa_user_sgpr_kernarg_segment_ptr 1
		.amdhsa_user_sgpr_dispatch_id 0
		.amdhsa_user_sgpr_private_segment_size 0
		.amdhsa_wavefront_size32 1
		.amdhsa_uses_dynamic_stack 0
		.amdhsa_enable_private_segment 0
		.amdhsa_system_sgpr_workgroup_id_x 1
		.amdhsa_system_sgpr_workgroup_id_y 0
		.amdhsa_system_sgpr_workgroup_id_z 0
		.amdhsa_system_sgpr_workgroup_info 0
		.amdhsa_system_vgpr_workitem_id 0
		.amdhsa_next_free_vgpr 32
		.amdhsa_next_free_sgpr 21
		.amdhsa_reserve_vcc 1
		.amdhsa_float_round_mode_32 0
		.amdhsa_float_round_mode_16_64 0
		.amdhsa_float_denorm_mode_32 3
		.amdhsa_float_denorm_mode_16_64 3
		.amdhsa_fp16_overflow 0
		.amdhsa_workgroup_processor_mode 1
		.amdhsa_memory_ordered 1
		.amdhsa_forward_progress 1
		.amdhsa_inst_pref_size 18
		.amdhsa_round_robin_scheduling 0
		.amdhsa_exception_fp_ieee_invalid_op 0
		.amdhsa_exception_fp_denorm_src 0
		.amdhsa_exception_fp_ieee_div_zero 0
		.amdhsa_exception_fp_ieee_overflow 0
		.amdhsa_exception_fp_ieee_underflow 0
		.amdhsa_exception_fp_ieee_inexact 0
		.amdhsa_exception_int_div_zero 0
	.end_amdhsa_kernel
	.section	.text._ZN2at6native12_GLOBAL__N_125multi_tensor_apply_kernelINS1_18TensorListMetadataILi2EEENS1_27BinaryOpScalarTensorFunctorIhLi2ELi1ELi1EEEJSt7dividesIhEPhhEEEvT_T0_DpT1_,"axG",@progbits,_ZN2at6native12_GLOBAL__N_125multi_tensor_apply_kernelINS1_18TensorListMetadataILi2EEENS1_27BinaryOpScalarTensorFunctorIhLi2ELi1ELi1EEEJSt7dividesIhEPhhEEEvT_T0_DpT1_,comdat
.Lfunc_end60:
	.size	_ZN2at6native12_GLOBAL__N_125multi_tensor_apply_kernelINS1_18TensorListMetadataILi2EEENS1_27BinaryOpScalarTensorFunctorIhLi2ELi1ELi1EEEJSt7dividesIhEPhhEEEvT_T0_DpT1_, .Lfunc_end60-_ZN2at6native12_GLOBAL__N_125multi_tensor_apply_kernelINS1_18TensorListMetadataILi2EEENS1_27BinaryOpScalarTensorFunctorIhLi2ELi1ELi1EEEJSt7dividesIhEPhhEEEvT_T0_DpT1_
                                        ; -- End function
	.set _ZN2at6native12_GLOBAL__N_125multi_tensor_apply_kernelINS1_18TensorListMetadataILi2EEENS1_27BinaryOpScalarTensorFunctorIhLi2ELi1ELi1EEEJSt7dividesIhEPhhEEEvT_T0_DpT1_.num_vgpr, 32
	.set _ZN2at6native12_GLOBAL__N_125multi_tensor_apply_kernelINS1_18TensorListMetadataILi2EEENS1_27BinaryOpScalarTensorFunctorIhLi2ELi1ELi1EEEJSt7dividesIhEPhhEEEvT_T0_DpT1_.num_agpr, 0
	.set _ZN2at6native12_GLOBAL__N_125multi_tensor_apply_kernelINS1_18TensorListMetadataILi2EEENS1_27BinaryOpScalarTensorFunctorIhLi2ELi1ELi1EEEJSt7dividesIhEPhhEEEvT_T0_DpT1_.numbered_sgpr, 21
	.set _ZN2at6native12_GLOBAL__N_125multi_tensor_apply_kernelINS1_18TensorListMetadataILi2EEENS1_27BinaryOpScalarTensorFunctorIhLi2ELi1ELi1EEEJSt7dividesIhEPhhEEEvT_T0_DpT1_.num_named_barrier, 0
	.set _ZN2at6native12_GLOBAL__N_125multi_tensor_apply_kernelINS1_18TensorListMetadataILi2EEENS1_27BinaryOpScalarTensorFunctorIhLi2ELi1ELi1EEEJSt7dividesIhEPhhEEEvT_T0_DpT1_.private_seg_size, 0
	.set _ZN2at6native12_GLOBAL__N_125multi_tensor_apply_kernelINS1_18TensorListMetadataILi2EEENS1_27BinaryOpScalarTensorFunctorIhLi2ELi1ELi1EEEJSt7dividesIhEPhhEEEvT_T0_DpT1_.uses_vcc, 1
	.set _ZN2at6native12_GLOBAL__N_125multi_tensor_apply_kernelINS1_18TensorListMetadataILi2EEENS1_27BinaryOpScalarTensorFunctorIhLi2ELi1ELi1EEEJSt7dividesIhEPhhEEEvT_T0_DpT1_.uses_flat_scratch, 0
	.set _ZN2at6native12_GLOBAL__N_125multi_tensor_apply_kernelINS1_18TensorListMetadataILi2EEENS1_27BinaryOpScalarTensorFunctorIhLi2ELi1ELi1EEEJSt7dividesIhEPhhEEEvT_T0_DpT1_.has_dyn_sized_stack, 0
	.set _ZN2at6native12_GLOBAL__N_125multi_tensor_apply_kernelINS1_18TensorListMetadataILi2EEENS1_27BinaryOpScalarTensorFunctorIhLi2ELi1ELi1EEEJSt7dividesIhEPhhEEEvT_T0_DpT1_.has_recursion, 0
	.set _ZN2at6native12_GLOBAL__N_125multi_tensor_apply_kernelINS1_18TensorListMetadataILi2EEENS1_27BinaryOpScalarTensorFunctorIhLi2ELi1ELi1EEEJSt7dividesIhEPhhEEEvT_T0_DpT1_.has_indirect_call, 0
	.section	.AMDGPU.csdata,"",@progbits
; Kernel info:
; codeLenInByte = 2184
; TotalNumSgprs: 23
; NumVgprs: 32
; ScratchSize: 0
; MemoryBound: 0
; FloatMode: 240
; IeeeMode: 1
; LDSByteSize: 0 bytes/workgroup (compile time only)
; SGPRBlocks: 0
; VGPRBlocks: 3
; NumSGPRsForWavesPerEU: 23
; NumVGPRsForWavesPerEU: 32
; Occupancy: 16
; WaveLimiterHint : 0
; COMPUTE_PGM_RSRC2:SCRATCH_EN: 0
; COMPUTE_PGM_RSRC2:USER_SGPR: 2
; COMPUTE_PGM_RSRC2:TRAP_HANDLER: 0
; COMPUTE_PGM_RSRC2:TGID_X_EN: 1
; COMPUTE_PGM_RSRC2:TGID_Y_EN: 0
; COMPUTE_PGM_RSRC2:TGID_Z_EN: 0
; COMPUTE_PGM_RSRC2:TIDIG_COMP_CNT: 0
	.section	.text._ZN2at6native12_GLOBAL__N_125multi_tensor_apply_kernelINS1_18TensorListMetadataILi2EEENS1_27BinaryOpScalarTensorFunctorIaLi2ELi1ELi1EEEJSt7dividesIaEPaaEEEvT_T0_DpT1_,"axG",@progbits,_ZN2at6native12_GLOBAL__N_125multi_tensor_apply_kernelINS1_18TensorListMetadataILi2EEENS1_27BinaryOpScalarTensorFunctorIaLi2ELi1ELi1EEEJSt7dividesIaEPaaEEEvT_T0_DpT1_,comdat
	.globl	_ZN2at6native12_GLOBAL__N_125multi_tensor_apply_kernelINS1_18TensorListMetadataILi2EEENS1_27BinaryOpScalarTensorFunctorIaLi2ELi1ELi1EEEJSt7dividesIaEPaaEEEvT_T0_DpT1_ ; -- Begin function _ZN2at6native12_GLOBAL__N_125multi_tensor_apply_kernelINS1_18TensorListMetadataILi2EEENS1_27BinaryOpScalarTensorFunctorIaLi2ELi1ELi1EEEJSt7dividesIaEPaaEEEvT_T0_DpT1_
	.p2align	8
	.type	_ZN2at6native12_GLOBAL__N_125multi_tensor_apply_kernelINS1_18TensorListMetadataILi2EEENS1_27BinaryOpScalarTensorFunctorIaLi2ELi1ELi1EEEJSt7dividesIaEPaaEEEvT_T0_DpT1_,@function
_ZN2at6native12_GLOBAL__N_125multi_tensor_apply_kernelINS1_18TensorListMetadataILi2EEENS1_27BinaryOpScalarTensorFunctorIaLi2ELi1ELi1EEEJSt7dividesIaEPaaEEEvT_T0_DpT1_: ; @_ZN2at6native12_GLOBAL__N_125multi_tensor_apply_kernelINS1_18TensorListMetadataILi2EEENS1_27BinaryOpScalarTensorFunctorIaLi2ELi1ELi1EEEJSt7dividesIaEPaaEEEvT_T0_DpT1_
; %bb.0:
	s_mov_b32 s2, ttmp9
	s_mov_b32 s3, 0
	s_delay_alu instid0(SALU_CYCLE_1) | instskip(SKIP_1) | instid1(SALU_CYCLE_1)
	s_mul_u64 s[4:5], s[2:3], 3
	s_add_nc_u64 s[2:3], s[0:1], s[2:3]
	s_add_nc_u64 s[2:3], s[2:3], s[4:5]
	s_clause 0x1
	s_load_b32 s2, s[2:3], 0x740
	s_load_u8 s3, s[0:1], ttmp9 offset:0x600
	s_wait_kmcnt 0x0
	s_lshl_b32 s3, s3, 3
	s_clause 0x3
	s_load_b64 s[12:13], s[0:1], s3 offset:0x400
	s_load_b64 s[8:9], s[0:1], s3 offset:0x0
	;; [unrolled: 1-line block ×3, first 2 shown]
	s_load_b96 s[4:6], s[0:1], 0xc50
	s_ashr_i32 s3, s2, 31
	s_delay_alu instid0(SALU_CYCLE_1) | instskip(SKIP_4) | instid1(SALU_CYCLE_1)
	s_lshl_b64 s[16:17], s[2:3], 16
	s_wait_kmcnt 0x0
	s_sub_nc_u64 s[14:15], s[12:13], s[16:17]
	s_add_nc_u64 s[2:3], s[8:9], s[16:17]
	s_or_b32 s3, s12, s10
	s_or_b32 s2, s3, s2
	s_delay_alu instid0(SALU_CYCLE_1) | instskip(NEXT) | instid1(SALU_CYCLE_1)
	s_and_b32 s2, s2, 3
	s_cmp_eq_u32 s2, 0
	s_mov_b32 s2, -1
	s_cbranch_scc0 .LBB61_5
; %bb.1:
	v_cmp_gt_i64_e64 s2, 0x10000, s[14:15]
	v_dual_mov_b32 v3, 0 :: v_dual_lshlrev_b32 v2, 2, v0
	s_mov_b32 s3, exec_lo
	s_and_b32 s2, s2, exec_lo
	s_cselect_b32 s13, s15, 0
	s_cselect_b32 s12, s14, 0x10000
	s_delay_alu instid0(SALU_CYCLE_1)
	v_cmpx_gt_i64_e64 s[12:13], v[2:3]
	s_cbranch_execz .LBB61_4
; %bb.2:
	s_load_b32 s2, s[0:1], 0xc6c
	v_mov_b32_e32 v1, v3
	v_add_co_u32 v4, s7, s16, v2
	s_delay_alu instid0(VALU_DEP_1) | instskip(NEXT) | instid1(VALU_DEP_3)
	v_add_co_ci_u32_e64 v5, null, s17, 0, s7
	v_mov_b32_e32 v2, v1
	v_mov_b32_e32 v1, v0
	s_mov_b32 s18, 0
	s_wait_kmcnt 0x0
	s_and_b32 s7, s2, 0xffff
	s_wait_alu 0xfffe
	s_lshl_b32 s19, s7, 2
.LBB61_3:                               ; =>This Inner Loop Header: Depth=1
	v_add_co_u32 v6, vcc_lo, s8, v4
	s_wait_alu 0xfffd
	v_add_co_ci_u32_e64 v7, null, s9, v5, vcc_lo
	v_add_co_u32 v1, vcc_lo, v1, s7
	global_load_u8 v8, v3, s[4:5]
	global_load_b32 v6, v[6:7], off
	s_wait_alu 0xfffd
	v_add_co_ci_u32_e64 v2, null, 0, v2, vcc_lo
	s_wait_loadcnt 0x1
	v_mul_lo_u32 v7, v8, s6
	s_wait_loadcnt 0x0
	v_bfe_i32 v8, v6, 0, 8
	v_bfe_i32 v9, v6, 8, 8
	;; [unrolled: 1-line block ×3, first 2 shown]
	v_ashrrev_i32_e32 v6, 24, v6
	s_delay_alu instid0(VALU_DEP_4) | instskip(NEXT) | instid1(VALU_DEP_4)
	v_cvt_f32_i32_e32 v11, v8
	v_cvt_f32_i32_e32 v12, v9
	v_bfe_i32 v7, v7, 0, 8
	v_cvt_f32_i32_e32 v13, v10
	v_cvt_f32_i32_e32 v14, v6
	s_delay_alu instid0(VALU_DEP_3)
	v_cvt_f32_i32_e32 v15, v7
	v_xor_b32_e32 v8, v8, v7
	v_xor_b32_e32 v9, v9, v7
	;; [unrolled: 1-line block ×4, first 2 shown]
	v_rcp_iflag_f32_e32 v7, v15
	v_ashrrev_i32_e32 v8, 30, v8
	v_ashrrev_i32_e32 v9, 30, v9
	;; [unrolled: 1-line block ×4, first 2 shown]
	s_delay_alu instid0(VALU_DEP_4) | instskip(NEXT) | instid1(VALU_DEP_4)
	v_or_b32_e32 v8, 1, v8
	v_or_b32_e32 v9, 1, v9
	s_delay_alu instid0(VALU_DEP_4) | instskip(NEXT) | instid1(VALU_DEP_4)
	v_or_b32_e32 v10, 1, v10
	v_or_b32_e32 v6, 1, v6
	s_delay_alu instid0(TRANS32_DEP_1) | instskip(NEXT) | instid1(VALU_DEP_1)
	v_mul_f32_e32 v16, v11, v7
	v_trunc_f32_e32 v16, v16
	s_delay_alu instid0(VALU_DEP_1) | instskip(SKIP_1) | instid1(VALU_DEP_2)
	v_fma_f32 v11, -v16, v15, v11
	v_cvt_i32_f32_e32 v16, v16
	v_cmp_ge_f32_e64 vcc_lo, |v11|, |v15|
	s_wait_alu 0xfffd
	v_dual_mul_f32 v17, v12, v7 :: v_dual_cndmask_b32 v8, 0, v8
	v_mul_f32_e32 v18, v13, v7
	s_delay_alu instid0(VALU_DEP_2) | instskip(NEXT) | instid1(VALU_DEP_3)
	v_trunc_f32_e32 v17, v17
	v_add_nc_u32_e32 v11, v16, v8
	s_delay_alu instid0(VALU_DEP_3) | instskip(NEXT) | instid1(VALU_DEP_3)
	v_trunc_f32_e32 v18, v18
	v_fma_f32 v12, -v17, v15, v12
	v_cvt_i32_f32_e32 v17, v17
	s_delay_alu instid0(VALU_DEP_3) | instskip(NEXT) | instid1(VALU_DEP_3)
	v_fma_f32 v13, -v18, v15, v13
	v_cmp_ge_f32_e64 vcc_lo, |v12|, |v15|
	v_cvt_i32_f32_e32 v18, v18
	s_wait_alu 0xfffd
	v_cndmask_b32_e32 v9, 0, v9, vcc_lo
	v_cmp_ge_f32_e64 vcc_lo, |v13|, |v15|
	s_delay_alu instid0(VALU_DEP_2) | instskip(SKIP_2) | instid1(VALU_DEP_2)
	v_dual_mul_f32 v7, v14, v7 :: v_dual_add_nc_u32 v12, v17, v9
	s_wait_alu 0xfffd
	v_cndmask_b32_e32 v10, 0, v10, vcc_lo
	v_trunc_f32_e32 v7, v7
	v_lshlrev_b64_e32 v[8:9], 2, v[1:2]
	v_perm_b32 v12, v12, v11, 0x5040100
	s_delay_alu instid0(VALU_DEP_4) | instskip(NEXT) | instid1(VALU_DEP_4)
	v_add_nc_u32_e32 v10, v18, v10
	v_fma_f32 v14, -v7, v15, v14
	v_cvt_i32_f32_e32 v7, v7
	s_delay_alu instid0(VALU_DEP_4) | instskip(NEXT) | instid1(VALU_DEP_3)
	v_perm_b32 v11, v11, v12, 0xc0c0204
	v_cmp_ge_f32_e64 vcc_lo, |v14|, |v15|
	s_wait_alu 0xfffd
	v_cndmask_b32_e32 v6, 0, v6, vcc_lo
	s_delay_alu instid0(VALU_DEP_1) | instskip(SKIP_2) | instid1(VALU_DEP_3)
	v_add_nc_u32_e32 v7, v7, v6
	v_add_co_u32 v6, vcc_lo, s10, v4
	v_add_co_u32 v4, s2, v4, s19
	v_perm_b32 v13, v7, v10, 0x5040100
	s_wait_alu 0xfffd
	v_add_co_ci_u32_e64 v7, null, s11, v5, vcc_lo
	v_cmp_le_i64_e32 vcc_lo, s[12:13], v[8:9]
	s_wait_alu 0xf1ff
	v_add_co_ci_u32_e64 v5, null, 0, v5, s2
	v_perm_b32 v10, v10, v13, 0xc0c0204
	s_or_b32 s18, vcc_lo, s18
	s_delay_alu instid0(VALU_DEP_1)
	v_lshl_or_b32 v8, v10, 16, v11
	global_store_b32 v[6:7], v8, off
	s_wait_alu 0xfffe
	s_and_not1_b32 exec_lo, exec_lo, s18
	s_cbranch_execnz .LBB61_3
.LBB61_4:
	s_or_b32 exec_lo, exec_lo, s3
	s_mov_b32 s2, 0
.LBB61_5:
	s_wait_alu 0xfffe
	s_and_not1_b32 vcc_lo, exec_lo, s2
	s_wait_alu 0xfffe
	s_cbranch_vccnz .LBB61_25
; %bb.6:
	v_cmp_lt_i64_e64 s2, s[14:15], 1
	s_and_b32 vcc_lo, exec_lo, s2
	s_wait_alu 0xfffe
	s_cbranch_vccnz .LBB61_25
; %bb.7:
	s_load_b32 s0, s[0:1], 0xc6c
	v_cmp_gt_i64_e64 s2, 0x10000, s[14:15]
	v_cmp_gt_u64_e64 s7, 0x10000, s[14:15]
	s_mov_b32 s1, 0
	v_add_co_u32 v16, s3, s16, v0
	s_wait_alu 0xf1ff
	v_add_co_ci_u32_e64 v17, null, s17, 0, s3
	s_and_b32 s2, s2, exec_lo
	s_cselect_b32 s13, s15, 0
	s_cselect_b32 s12, s14, 0x10000
	s_mov_b32 s3, s1
	v_add_co_u32 v2, vcc_lo, s8, v16
	s_wait_alu 0xfffd
	v_add_co_ci_u32_e64 v3, null, s9, v17, vcc_lo
	v_add_co_u32 v4, vcc_lo, s10, v16
	s_wait_alu 0xfffd
	v_add_co_ci_u32_e64 v5, null, s11, v17, vcc_lo
	s_wait_kmcnt 0x0
	s_and_b32 s20, s0, 0xffff
	s_and_b32 s0, s7, exec_lo
	s_mul_i32 s2, s20, 3
	s_cselect_b32 s15, s15, 0
	s_wait_alu 0xfffe
	s_add_nc_u64 s[18:19], s[16:17], s[2:3]
	s_cselect_b32 s14, s14, 0x10000
	s_lshl_b32 s0, s20, 1
	s_wait_alu 0xfffe
	v_add_co_u32 v8, s3, s18, v0
	s_wait_alu 0xf1ff
	v_add_co_ci_u32_e64 v9, null, s19, 0, s3
	s_add_nc_u64 s[16:17], s[16:17], s[0:1]
	v_add_co_u32 v6, vcc_lo, s8, v8
	s_wait_alu 0xfffe
	v_add_co_u32 v14, s3, s16, v0
	s_wait_alu 0xf1ff
	v_add_co_ci_u32_e64 v15, null, s17, 0, s3
	s_wait_alu 0xfffd
	v_add_co_ci_u32_e64 v7, null, s9, v9, vcc_lo
	v_add_co_u32 v8, vcc_lo, s10, v8
	s_wait_alu 0xfffd
	v_add_co_ci_u32_e64 v9, null, s11, v9, vcc_lo
	v_add_co_u32 v12, vcc_lo, s8, v14
	;; [unrolled: 3-line block ×4, first 2 shown]
	s_wait_alu 0xfffd
	v_add_co_ci_u32_e64 v21, null, 0, v17, vcc_lo
	v_add_co_u32 v16, s0, s0, v0
	s_delay_alu instid0(VALU_DEP_3)
	v_add_co_u32 v18, vcc_lo, s8, v20
	v_add_co_u32 v10, s2, s2, v0
	s_wait_alu 0xf1ff
	v_add_co_ci_u32_e64 v17, null, 0, 0, s0
	s_wait_alu 0xfffd
	v_add_co_ci_u32_e64 v19, null, s9, v21, vcc_lo
	v_add_co_u32 v20, vcc_lo, s10, v20
	v_add_co_u32 v22, s0, v0, s20
	v_dual_mov_b32 v1, 0 :: v_dual_mov_b32 v24, 0
	v_add_co_ci_u32_e64 v11, null, 0, 0, s2
	s_wait_alu 0xfffd
	v_add_co_ci_u32_e64 v21, null, s11, v21, vcc_lo
	s_wait_alu 0xf1ff
	v_add_co_ci_u32_e64 v23, null, 0, 0, s0
	s_lshl_b32 s8, s20, 2
	s_mov_b32 s9, s1
	s_mov_b64 s[10:11], 0
	s_branch .LBB61_9
.LBB61_8:                               ;   in Loop: Header=BB61_9 Depth=1
	s_wait_alu 0xfffe
	s_or_b32 exec_lo, exec_lo, s0
	v_perm_b32 v25, v25, v27, 0xc0c0004
	s_add_nc_u64 s[10:11], s[10:11], s[8:9]
	v_perm_b32 v24, v28, v24, 0xc0c0004
	s_wait_alu 0xfffe
	v_cmp_ge_i64_e64 s0, s[10:11], s[12:13]
	s_delay_alu instid0(VALU_DEP_2)
	v_lshl_or_b32 v24, v24, 16, v25
	s_and_b32 vcc_lo, exec_lo, s0
	s_wait_alu 0xfffe
	s_cbranch_vccnz .LBB61_25
.LBB61_9:                               ; =>This Inner Loop Header: Depth=1
	s_wait_alu 0xfffe
	v_add_co_u32 v25, s0, v0, s10
	s_wait_alu 0xf1ff
	v_add_co_ci_u32_e64 v26, null, 0, s11, s0
	v_and_b32_e32 v24, 0xffffff00, v24
	s_delay_alu instid0(VALU_DEP_2)
	v_cmp_gt_u64_e64 s2, s[14:15], v[25:26]
	s_and_saveexec_b32 s0, s2
	s_cbranch_execz .LBB61_11
; %bb.10:                               ;   in Loop: Header=BB61_9 Depth=1
	v_add_co_u32 v25, vcc_lo, v2, s10
	s_wait_alu 0xfffd
	v_add_co_ci_u32_e64 v26, null, s11, v3, vcc_lo
	global_load_u8 v25, v[25:26], off
	s_wait_loadcnt 0x0
	v_perm_b32 v24, v25, v24, 0x3020104
.LBB61_11:                              ;   in Loop: Header=BB61_9 Depth=1
	s_wait_alu 0xfffe
	s_or_b32 exec_lo, exec_lo, s0
	v_add_co_u32 v25, vcc_lo, v22, s10
	s_wait_alu 0xfffd
	v_add_co_ci_u32_e64 v26, null, s11, v23, vcc_lo
	v_and_b32_e32 v24, 0xffff00ff, v24
	s_delay_alu instid0(VALU_DEP_2)
	v_cmp_gt_u64_e64 s1, s[14:15], v[25:26]
	s_and_saveexec_b32 s0, s1
	s_cbranch_execz .LBB61_13
; %bb.12:                               ;   in Loop: Header=BB61_9 Depth=1
	v_add_co_u32 v25, vcc_lo, v18, s10
	s_wait_alu 0xfffd
	v_add_co_ci_u32_e64 v26, null, s11, v19, vcc_lo
	global_load_u8 v25, v[25:26], off
	s_wait_loadcnt 0x0
	v_perm_b32 v24, v24, v25, 0x7060004
.LBB61_13:                              ;   in Loop: Header=BB61_9 Depth=1
	s_wait_alu 0xfffe
	s_or_b32 exec_lo, exec_lo, s0
	v_add_co_u32 v25, vcc_lo, v16, s10
	s_wait_alu 0xfffd
	v_add_co_ci_u32_e64 v26, null, s11, v17, vcc_lo
	;; [unrolled: 18-line block ×3, first 2 shown]
	v_and_b32_e32 v24, 0xffffff, v24
	s_delay_alu instid0(VALU_DEP_2)
	v_cmp_gt_u64_e32 vcc_lo, s[14:15], v[25:26]
	s_and_saveexec_b32 s7, vcc_lo
	s_cbranch_execz .LBB61_17
; %bb.16:                               ;   in Loop: Header=BB61_9 Depth=1
	v_add_co_u32 v25, s3, v6, s10
	s_wait_alu 0xf1ff
	v_add_co_ci_u32_e64 v26, null, s11, v7, s3
	global_load_u8 v25, v[25:26], off
	v_lshrrev_b32_e32 v26, 16, v24
	s_wait_loadcnt 0x0
	v_lshlrev_b16 v25, 8, v25
	s_delay_alu instid0(VALU_DEP_1) | instskip(NEXT) | instid1(VALU_DEP_1)
	v_or_b32_e32 v25, v26, v25
	v_lshlrev_b32_e32 v25, 16, v25
	s_delay_alu instid0(VALU_DEP_1)
	v_and_or_b32 v24, 0xffff, v24, v25
.LBB61_17:                              ;   in Loop: Header=BB61_9 Depth=1
	s_wait_alu 0xfffe
	s_or_b32 exec_lo, exec_lo, s7
	global_load_u8 v25, v1, s[4:5]
	s_wait_loadcnt 0x0
	v_readfirstlane_b32 s3, v25
	v_bfe_i32 v25, v24, 0, 8
	s_mul_i32 s3, s3, s6
	s_delay_alu instid0(VALU_DEP_1)
	v_cvt_f32_i32_e32 v27, v25
	s_wait_alu 0xfffe
	s_sext_i32_i8 s7, s3
	s_wait_alu 0xfffe
	s_cvt_f32_i32 s16, s7
	v_xor_b32_e32 v25, s7, v25
	s_wait_alu 0xfffe
	s_delay_alu instid0(SALU_CYCLE_1) | instskip(NEXT) | instid1(VALU_DEP_1)
	v_rcp_iflag_f32_e32 v26, s16
	v_ashrrev_i32_e32 v25, 30, v25
	s_delay_alu instid0(VALU_DEP_1) | instskip(NEXT) | instid1(TRANS32_DEP_1)
	v_or_b32_e32 v25, 1, v25
	v_mul_f32_e32 v28, v27, v26
	s_delay_alu instid0(VALU_DEP_1) | instskip(NEXT) | instid1(VALU_DEP_1)
	v_trunc_f32_e32 v28, v28
	v_fma_f32 v27, -v28, s16, v27
	v_cvt_i32_f32_e32 v28, v28
	s_delay_alu instid0(VALU_DEP_2) | instskip(SKIP_1) | instid1(VALU_DEP_1)
	v_cmp_ge_f32_e64 s3, |v27|, |s16|
	s_wait_alu 0xf1ff
	v_cndmask_b32_e64 v25, 0, v25, s3
	s_delay_alu instid0(VALU_DEP_1) | instskip(NEXT) | instid1(VALU_DEP_1)
	v_add_nc_u32_e32 v25, v28, v25
	v_bfe_i32 v25, v25, 0, 8
	s_and_saveexec_b32 s3, s2
	s_cbranch_execz .LBB61_19
; %bb.18:                               ;   in Loop: Header=BB61_9 Depth=1
	v_add_co_u32 v27, s2, v4, s10
	s_wait_alu 0xf1ff
	v_add_co_ci_u32_e64 v28, null, s11, v5, s2
	global_store_b8 v[27:28], v25, off
.LBB61_19:                              ;   in Loop: Header=BB61_9 Depth=1
	s_wait_alu 0xfffe
	s_or_b32 exec_lo, exec_lo, s3
	v_bfe_i32 v27, v24, 8, 8
	s_and_b32 s3, s16, 0x7fffffff
	s_delay_alu instid0(VALU_DEP_1) | instskip(SKIP_1) | instid1(VALU_DEP_2)
	v_cvt_f32_i32_e32 v28, v27
	v_xor_b32_e32 v27, s7, v27
	v_mul_f32_e32 v29, v28, v26
	s_delay_alu instid0(VALU_DEP_2) | instskip(NEXT) | instid1(VALU_DEP_2)
	v_ashrrev_i32_e32 v27, 30, v27
	v_trunc_f32_e32 v29, v29
	s_delay_alu instid0(VALU_DEP_2) | instskip(NEXT) | instid1(VALU_DEP_2)
	v_or_b32_e32 v27, 1, v27
	v_fma_f32 v28, -v29, s16, v28
	v_cvt_i32_f32_e32 v29, v29
	s_wait_alu 0xfffe
	s_delay_alu instid0(VALU_DEP_2) | instskip(SKIP_1) | instid1(VALU_DEP_1)
	v_cmp_ge_f32_e64 s2, |v28|, s3
	s_wait_alu 0xf1ff
	v_cndmask_b32_e64 v27, 0, v27, s2
	s_delay_alu instid0(VALU_DEP_1) | instskip(NEXT) | instid1(VALU_DEP_1)
	v_add_nc_u32_e32 v27, v29, v27
	v_bfe_i32 v27, v27, 0, 8
	s_and_saveexec_b32 s2, s1
	s_cbranch_execz .LBB61_21
; %bb.20:                               ;   in Loop: Header=BB61_9 Depth=1
	v_add_co_u32 v28, s1, v20, s10
	s_wait_alu 0xf1ff
	v_add_co_ci_u32_e64 v29, null, s11, v21, s1
	global_store_b8 v[28:29], v27, off
.LBB61_21:                              ;   in Loop: Header=BB61_9 Depth=1
	s_wait_alu 0xfffe
	s_or_b32 exec_lo, exec_lo, s2
	v_bfe_i32 v28, v24, 16, 8
	s_delay_alu instid0(VALU_DEP_1) | instskip(SKIP_1) | instid1(VALU_DEP_2)
	v_cvt_f32_i32_e32 v29, v28
	v_xor_b32_e32 v28, s7, v28
	v_mul_f32_e32 v30, v29, v26
	s_delay_alu instid0(VALU_DEP_2) | instskip(NEXT) | instid1(VALU_DEP_2)
	v_ashrrev_i32_e32 v28, 30, v28
	v_trunc_f32_e32 v30, v30
	s_delay_alu instid0(VALU_DEP_2) | instskip(NEXT) | instid1(VALU_DEP_2)
	v_or_b32_e32 v28, 1, v28
	v_fma_f32 v29, -v30, s16, v29
	v_cvt_i32_f32_e32 v30, v30
	s_delay_alu instid0(VALU_DEP_2) | instskip(SKIP_1) | instid1(VALU_DEP_1)
	v_cmp_ge_f32_e64 s1, |v29|, s3
	s_wait_alu 0xf1ff
	v_cndmask_b32_e64 v28, 0, v28, s1
	s_delay_alu instid0(VALU_DEP_1) | instskip(NEXT) | instid1(VALU_DEP_1)
	v_add_nc_u32_e32 v28, v30, v28
	v_bfe_i32 v28, v28, 0, 8
	s_and_saveexec_b32 s1, s0
	s_cbranch_execz .LBB61_23
; %bb.22:                               ;   in Loop: Header=BB61_9 Depth=1
	v_add_co_u32 v29, s0, v14, s10
	s_wait_alu 0xf1ff
	v_add_co_ci_u32_e64 v30, null, s11, v15, s0
	global_store_b8 v[29:30], v28, off
.LBB61_23:                              ;   in Loop: Header=BB61_9 Depth=1
	s_wait_alu 0xfffe
	s_or_b32 exec_lo, exec_lo, s1
	v_ashrrev_i32_e32 v24, 24, v24
	s_delay_alu instid0(VALU_DEP_1) | instskip(SKIP_1) | instid1(VALU_DEP_2)
	v_cvt_f32_i32_e32 v29, v24
	v_xor_b32_e32 v24, s7, v24
	v_mul_f32_e32 v26, v29, v26
	s_delay_alu instid0(VALU_DEP_2) | instskip(NEXT) | instid1(VALU_DEP_2)
	v_ashrrev_i32_e32 v24, 30, v24
	v_trunc_f32_e32 v26, v26
	s_delay_alu instid0(VALU_DEP_2) | instskip(NEXT) | instid1(VALU_DEP_2)
	v_or_b32_e32 v24, 1, v24
	v_fma_f32 v29, -v26, s16, v29
	v_cvt_i32_f32_e32 v26, v26
	s_delay_alu instid0(VALU_DEP_2) | instskip(SKIP_1) | instid1(VALU_DEP_1)
	v_cmp_ge_f32_e64 s0, |v29|, s3
	s_wait_alu 0xf1ff
	v_cndmask_b32_e64 v24, 0, v24, s0
	s_delay_alu instid0(VALU_DEP_1) | instskip(NEXT) | instid1(VALU_DEP_1)
	v_add_nc_u32_e32 v24, v26, v24
	v_bfe_i32 v24, v24, 0, 8
	s_and_saveexec_b32 s0, vcc_lo
	s_cbranch_execz .LBB61_8
; %bb.24:                               ;   in Loop: Header=BB61_9 Depth=1
	v_add_co_u32 v29, vcc_lo, v8, s10
	s_wait_alu 0xfffd
	v_add_co_ci_u32_e64 v30, null, s11, v9, vcc_lo
	global_store_b8 v[29:30], v24, off
	s_branch .LBB61_8
.LBB61_25:
	s_endpgm
	.section	.rodata,"a",@progbits
	.p2align	6, 0x0
	.amdhsa_kernel _ZN2at6native12_GLOBAL__N_125multi_tensor_apply_kernelINS1_18TensorListMetadataILi2EEENS1_27BinaryOpScalarTensorFunctorIaLi2ELi1ELi1EEEJSt7dividesIaEPaaEEEvT_T0_DpT1_
		.amdhsa_group_segment_fixed_size 0
		.amdhsa_private_segment_fixed_size 0
		.amdhsa_kernarg_size 3424
		.amdhsa_user_sgpr_count 2
		.amdhsa_user_sgpr_dispatch_ptr 0
		.amdhsa_user_sgpr_queue_ptr 0
		.amdhsa_user_sgpr_kernarg_segment_ptr 1
		.amdhsa_user_sgpr_dispatch_id 0
		.amdhsa_user_sgpr_private_segment_size 0
		.amdhsa_wavefront_size32 1
		.amdhsa_uses_dynamic_stack 0
		.amdhsa_enable_private_segment 0
		.amdhsa_system_sgpr_workgroup_id_x 1
		.amdhsa_system_sgpr_workgroup_id_y 0
		.amdhsa_system_sgpr_workgroup_id_z 0
		.amdhsa_system_sgpr_workgroup_info 0
		.amdhsa_system_vgpr_workitem_id 0
		.amdhsa_next_free_vgpr 31
		.amdhsa_next_free_sgpr 21
		.amdhsa_reserve_vcc 1
		.amdhsa_float_round_mode_32 0
		.amdhsa_float_round_mode_16_64 0
		.amdhsa_float_denorm_mode_32 3
		.amdhsa_float_denorm_mode_16_64 3
		.amdhsa_fp16_overflow 0
		.amdhsa_workgroup_processor_mode 1
		.amdhsa_memory_ordered 1
		.amdhsa_forward_progress 1
		.amdhsa_inst_pref_size 19
		.amdhsa_round_robin_scheduling 0
		.amdhsa_exception_fp_ieee_invalid_op 0
		.amdhsa_exception_fp_denorm_src 0
		.amdhsa_exception_fp_ieee_div_zero 0
		.amdhsa_exception_fp_ieee_overflow 0
		.amdhsa_exception_fp_ieee_underflow 0
		.amdhsa_exception_fp_ieee_inexact 0
		.amdhsa_exception_int_div_zero 0
	.end_amdhsa_kernel
	.section	.text._ZN2at6native12_GLOBAL__N_125multi_tensor_apply_kernelINS1_18TensorListMetadataILi2EEENS1_27BinaryOpScalarTensorFunctorIaLi2ELi1ELi1EEEJSt7dividesIaEPaaEEEvT_T0_DpT1_,"axG",@progbits,_ZN2at6native12_GLOBAL__N_125multi_tensor_apply_kernelINS1_18TensorListMetadataILi2EEENS1_27BinaryOpScalarTensorFunctorIaLi2ELi1ELi1EEEJSt7dividesIaEPaaEEEvT_T0_DpT1_,comdat
.Lfunc_end61:
	.size	_ZN2at6native12_GLOBAL__N_125multi_tensor_apply_kernelINS1_18TensorListMetadataILi2EEENS1_27BinaryOpScalarTensorFunctorIaLi2ELi1ELi1EEEJSt7dividesIaEPaaEEEvT_T0_DpT1_, .Lfunc_end61-_ZN2at6native12_GLOBAL__N_125multi_tensor_apply_kernelINS1_18TensorListMetadataILi2EEENS1_27BinaryOpScalarTensorFunctorIaLi2ELi1ELi1EEEJSt7dividesIaEPaaEEEvT_T0_DpT1_
                                        ; -- End function
	.set _ZN2at6native12_GLOBAL__N_125multi_tensor_apply_kernelINS1_18TensorListMetadataILi2EEENS1_27BinaryOpScalarTensorFunctorIaLi2ELi1ELi1EEEJSt7dividesIaEPaaEEEvT_T0_DpT1_.num_vgpr, 31
	.set _ZN2at6native12_GLOBAL__N_125multi_tensor_apply_kernelINS1_18TensorListMetadataILi2EEENS1_27BinaryOpScalarTensorFunctorIaLi2ELi1ELi1EEEJSt7dividesIaEPaaEEEvT_T0_DpT1_.num_agpr, 0
	.set _ZN2at6native12_GLOBAL__N_125multi_tensor_apply_kernelINS1_18TensorListMetadataILi2EEENS1_27BinaryOpScalarTensorFunctorIaLi2ELi1ELi1EEEJSt7dividesIaEPaaEEEvT_T0_DpT1_.numbered_sgpr, 21
	.set _ZN2at6native12_GLOBAL__N_125multi_tensor_apply_kernelINS1_18TensorListMetadataILi2EEENS1_27BinaryOpScalarTensorFunctorIaLi2ELi1ELi1EEEJSt7dividesIaEPaaEEEvT_T0_DpT1_.num_named_barrier, 0
	.set _ZN2at6native12_GLOBAL__N_125multi_tensor_apply_kernelINS1_18TensorListMetadataILi2EEENS1_27BinaryOpScalarTensorFunctorIaLi2ELi1ELi1EEEJSt7dividesIaEPaaEEEvT_T0_DpT1_.private_seg_size, 0
	.set _ZN2at6native12_GLOBAL__N_125multi_tensor_apply_kernelINS1_18TensorListMetadataILi2EEENS1_27BinaryOpScalarTensorFunctorIaLi2ELi1ELi1EEEJSt7dividesIaEPaaEEEvT_T0_DpT1_.uses_vcc, 1
	.set _ZN2at6native12_GLOBAL__N_125multi_tensor_apply_kernelINS1_18TensorListMetadataILi2EEENS1_27BinaryOpScalarTensorFunctorIaLi2ELi1ELi1EEEJSt7dividesIaEPaaEEEvT_T0_DpT1_.uses_flat_scratch, 0
	.set _ZN2at6native12_GLOBAL__N_125multi_tensor_apply_kernelINS1_18TensorListMetadataILi2EEENS1_27BinaryOpScalarTensorFunctorIaLi2ELi1ELi1EEEJSt7dividesIaEPaaEEEvT_T0_DpT1_.has_dyn_sized_stack, 0
	.set _ZN2at6native12_GLOBAL__N_125multi_tensor_apply_kernelINS1_18TensorListMetadataILi2EEENS1_27BinaryOpScalarTensorFunctorIaLi2ELi1ELi1EEEJSt7dividesIaEPaaEEEvT_T0_DpT1_.has_recursion, 0
	.set _ZN2at6native12_GLOBAL__N_125multi_tensor_apply_kernelINS1_18TensorListMetadataILi2EEENS1_27BinaryOpScalarTensorFunctorIaLi2ELi1ELi1EEEJSt7dividesIaEPaaEEEvT_T0_DpT1_.has_indirect_call, 0
	.section	.AMDGPU.csdata,"",@progbits
; Kernel info:
; codeLenInByte = 2428
; TotalNumSgprs: 23
; NumVgprs: 31
; ScratchSize: 0
; MemoryBound: 0
; FloatMode: 240
; IeeeMode: 1
; LDSByteSize: 0 bytes/workgroup (compile time only)
; SGPRBlocks: 0
; VGPRBlocks: 3
; NumSGPRsForWavesPerEU: 23
; NumVGPRsForWavesPerEU: 31
; Occupancy: 16
; WaveLimiterHint : 0
; COMPUTE_PGM_RSRC2:SCRATCH_EN: 0
; COMPUTE_PGM_RSRC2:USER_SGPR: 2
; COMPUTE_PGM_RSRC2:TRAP_HANDLER: 0
; COMPUTE_PGM_RSRC2:TGID_X_EN: 1
; COMPUTE_PGM_RSRC2:TGID_Y_EN: 0
; COMPUTE_PGM_RSRC2:TGID_Z_EN: 0
; COMPUTE_PGM_RSRC2:TIDIG_COMP_CNT: 0
	.section	.text._ZN2at6native12_GLOBAL__N_125multi_tensor_apply_kernelINS1_18TensorListMetadataILi2EEENS1_27BinaryOpScalarTensorFunctorIiLi2ELi1ELi1EEEJSt7dividesIiEPiiEEEvT_T0_DpT1_,"axG",@progbits,_ZN2at6native12_GLOBAL__N_125multi_tensor_apply_kernelINS1_18TensorListMetadataILi2EEENS1_27BinaryOpScalarTensorFunctorIiLi2ELi1ELi1EEEJSt7dividesIiEPiiEEEvT_T0_DpT1_,comdat
	.globl	_ZN2at6native12_GLOBAL__N_125multi_tensor_apply_kernelINS1_18TensorListMetadataILi2EEENS1_27BinaryOpScalarTensorFunctorIiLi2ELi1ELi1EEEJSt7dividesIiEPiiEEEvT_T0_DpT1_ ; -- Begin function _ZN2at6native12_GLOBAL__N_125multi_tensor_apply_kernelINS1_18TensorListMetadataILi2EEENS1_27BinaryOpScalarTensorFunctorIiLi2ELi1ELi1EEEJSt7dividesIiEPiiEEEvT_T0_DpT1_
	.p2align	8
	.type	_ZN2at6native12_GLOBAL__N_125multi_tensor_apply_kernelINS1_18TensorListMetadataILi2EEENS1_27BinaryOpScalarTensorFunctorIiLi2ELi1ELi1EEEJSt7dividesIiEPiiEEEvT_T0_DpT1_,@function
_ZN2at6native12_GLOBAL__N_125multi_tensor_apply_kernelINS1_18TensorListMetadataILi2EEENS1_27BinaryOpScalarTensorFunctorIiLi2ELi1ELi1EEEJSt7dividesIiEPiiEEEvT_T0_DpT1_: ; @_ZN2at6native12_GLOBAL__N_125multi_tensor_apply_kernelINS1_18TensorListMetadataILi2EEENS1_27BinaryOpScalarTensorFunctorIiLi2ELi1ELi1EEEJSt7dividesIiEPiiEEEvT_T0_DpT1_
; %bb.0:
	s_mov_b32 s2, ttmp9
	s_mov_b32 s3, 0
	s_delay_alu instid0(SALU_CYCLE_1)
	s_mul_u64 s[4:5], s[2:3], 3
	s_add_nc_u64 s[6:7], s[0:1], s[2:3]
	s_mov_b32 s19, s3
	s_add_nc_u64 s[4:5], s[6:7], s[4:5]
	s_clause 0x1
	s_load_b32 s4, s[4:5], 0x740
	s_load_u8 s2, s[0:1], ttmp9 offset:0x600
	s_mov_b32 s21, s3
	s_wait_kmcnt 0x0
	s_ashr_i32 s5, s4, 31
	s_lshl_b32 s2, s2, 3
	s_clause 0x3
	s_load_b64 s[14:15], s[0:1], s2 offset:0x0
	s_load_b64 s[16:17], s[0:1], s2 offset:0x200
	;; [unrolled: 1-line block ×3, first 2 shown]
	s_load_b96 s[8:10], s[0:1], 0xc50
	s_lshl_b64 s[12:13], s[4:5], 18
	s_lshl_b64 s[4:5], s[4:5], 16
	s_wait_kmcnt 0x0
	s_add_nc_u64 s[22:23], s[14:15], s[12:13]
	s_and_b32 s18, s16, 15
	s_and_b32 s20, s6, 3
	;; [unrolled: 1-line block ×3, first 2 shown]
	s_or_b64 s[18:19], s[18:19], s[20:21]
	s_delay_alu instid0(SALU_CYCLE_1)
	s_or_b64 s[2:3], s[18:19], s[2:3]
	s_sub_nc_u64 s[18:19], s[6:7], s[4:5]
	s_cmp_eq_u64 s[2:3], 0
	s_mov_b32 s2, -1
	s_cbranch_scc0 .LBB62_5
; %bb.1:
	v_cmp_gt_i64_e64 s2, 0x10000, s[18:19]
	v_dual_mov_b32 v2, 0 :: v_dual_lshlrev_b32 v1, 2, v0
	s_mov_b32 s7, exec_lo
	s_and_b32 s2, s2, exec_lo
	s_cselect_b32 s21, s19, 0
	s_cselect_b32 s20, s18, 0x10000
	s_delay_alu instid0(SALU_CYCLE_1)
	v_cmpx_gt_i64_e64 s[20:21], v[1:2]
	s_cbranch_execz .LBB62_4
; %bb.2:
	s_load_b32 s2, s[0:1], 0xc6c
	v_lshlrev_b32_e32 v3, 4, v0
	v_mov_b32_e32 v1, v2
	s_mov_b32 s22, 0
	s_delay_alu instid0(VALU_DEP_2) | instskip(NEXT) | instid1(VALU_DEP_1)
	v_add_co_u32 v5, s3, s12, v3
	v_add_co_ci_u32_e64 v6, null, s13, 0, s3
	s_delay_alu instid0(VALU_DEP_3) | instskip(SKIP_2) | instid1(SALU_CYCLE_1)
	v_dual_mov_b32 v4, v1 :: v_dual_mov_b32 v3, v0
	s_wait_kmcnt 0x0
	s_and_b32 s11, s2, 0xffff
	s_lshl_b32 s23, s11, 4
.LBB62_3:                               ; =>This Inner Loop Header: Depth=1
	global_load_b32 v1, v2, s[8:9]
	v_add_co_u32 v7, vcc_lo, s14, v5
	s_wait_alu 0xfffd
	v_add_co_ci_u32_e64 v8, null, s15, v6, vcc_lo
	v_add_co_u32 v3, vcc_lo, v3, s11
	s_wait_alu 0xfffd
	v_add_co_ci_u32_e64 v4, null, 0, v4, vcc_lo
	global_load_b128 v[7:10], v[7:8], off
	v_add_co_u32 v11, vcc_lo, s16, v5
	v_lshlrev_b64_e32 v[13:14], 2, v[3:4]
	s_wait_alu 0xfffd
	v_add_co_ci_u32_e64 v12, null, s17, v6, vcc_lo
	v_add_co_u32 v5, vcc_lo, v5, s23
	s_wait_alu 0xfffd
	v_add_co_ci_u32_e64 v6, null, 0, v6, vcc_lo
	v_cmp_le_i64_e64 s2, s[20:21], v[13:14]
	s_wait_loadcnt 0x1
	v_readfirstlane_b32 s3, v1
	s_mul_i32 s3, s3, s10
	s_wait_alu 0xfffe
	s_abs_i32 s24, s3
	s_ashr_i32 s3, s3, 31
	s_wait_loadcnt 0x0
	v_sub_nc_u32_e32 v13, 0, v7
	v_ashrrev_i32_e32 v14, 31, v8
	v_ashrrev_i32_e32 v16, 31, v9
	s_wait_alu 0xfffe
	s_cvt_f32_u32 s4, s24
	v_ashrrev_i32_e32 v1, 31, v7
	v_max_i32_e32 v7, v7, v13
	v_xor_b32_e32 v13, s3, v14
	v_xor_b32_e32 v14, s3, v16
	s_wait_alu 0xfffe
	v_rcp_iflag_f32_e32 v16, s4
	v_sub_nc_u32_e32 v15, 0, v8
	v_ashrrev_i32_e32 v18, 31, v10
	v_xor_b32_e32 v1, s3, v1
	s_sub_co_i32 s5, 0, s24
	v_sub_nc_u32_e32 v17, 0, v9
	v_max_i32_e32 v8, v8, v15
	v_xor_b32_e32 v15, s3, v18
	v_sub_nc_u32_e32 v19, 0, v10
	s_delay_alu instid0(TRANS32_DEP_1) | instskip(SKIP_1) | instid1(VALU_DEP_3)
	v_readfirstlane_b32 s3, v16
	v_max_i32_e32 v9, v9, v17
	v_max_i32_e32 v10, v10, v19
	s_mul_f32 s3, s3, 0x4f7ffffe
	s_wait_alu 0xfffe
	s_delay_alu instid0(SALU_CYCLE_2) | instskip(SKIP_1) | instid1(SALU_CYCLE_2)
	s_cvt_u32_f32 s3, s3
	s_wait_alu 0xfffe
	s_mul_i32 s5, s5, s3
	s_wait_alu 0xfffe
	s_mul_hi_u32 s4, s3, s5
	s_wait_alu 0xfffe
	s_add_co_i32 s3, s3, s4
	s_or_b32 s22, s2, s22
	s_wait_alu 0xfffe
	v_mul_hi_u32 v16, v7, s3
	v_mul_hi_u32 v17, v8, s3
	;; [unrolled: 1-line block ×4, first 2 shown]
	s_delay_alu instid0(VALU_DEP_4) | instskip(NEXT) | instid1(VALU_DEP_4)
	v_mul_lo_u32 v20, v16, s24
	v_mul_lo_u32 v22, v17, s24
	s_delay_alu instid0(VALU_DEP_4)
	v_mul_lo_u32 v23, v18, s24
	v_add_nc_u32_e32 v21, 1, v16
	v_mul_lo_u32 v24, v19, s24
	v_add_nc_u32_e32 v25, 1, v17
	v_add_nc_u32_e32 v26, 1, v18
	;; [unrolled: 1-line block ×3, first 2 shown]
	v_sub_nc_u32_e32 v7, v7, v20
	v_sub_nc_u32_e32 v8, v8, v22
	;; [unrolled: 1-line block ×4, first 2 shown]
	s_delay_alu instid0(VALU_DEP_4)
	v_cmp_le_u32_e64 s3, s24, v7
	v_subrev_nc_u32_e32 v20, s24, v7
	v_cmp_le_u32_e64 s4, s24, v8
	v_cmp_le_u32_e64 s5, s24, v9
	v_subrev_nc_u32_e32 v22, s24, v9
	s_wait_alu 0xf1ff
	v_cndmask_b32_e64 v16, v16, v21, s3
	v_subrev_nc_u32_e32 v21, s24, v8
	v_cndmask_b32_e64 v7, v7, v20, s3
	v_cndmask_b32_e64 v17, v17, v25, s4
	;; [unrolled: 1-line block ×3, first 2 shown]
	v_add_nc_u32_e32 v20, 1, v16
	v_cndmask_b32_e64 v8, v8, v21, s4
	v_cmp_le_u32_e64 s3, s24, v7
	v_cmp_le_u32_e64 s6, s24, v10
	v_subrev_nc_u32_e32 v23, s24, v10
	v_add_nc_u32_e32 v21, 1, v17
	v_cndmask_b32_e64 v9, v9, v22, s5
	s_wait_alu 0xf1ff
	v_cndmask_b32_e64 v7, v16, v20, s3
	v_cmp_le_u32_e64 s3, s24, v8
	v_cndmask_b32_e64 v19, v19, v27, s6
	v_add_nc_u32_e32 v22, 1, v18
	v_cndmask_b32_e64 v10, v10, v23, s6
	v_xor_b32_e32 v7, v7, v1
	s_wait_alu 0xf1ff
	v_cndmask_b32_e64 v8, v17, v21, s3
	v_cmp_le_u32_e64 s3, s24, v9
	v_add_nc_u32_e32 v23, 1, v19
	v_sub_nc_u32_e32 v7, v7, v1
	s_delay_alu instid0(VALU_DEP_4) | instskip(SKIP_3) | instid1(VALU_DEP_3)
	v_xor_b32_e32 v8, v8, v13
	s_wait_alu 0xf1ff
	v_cndmask_b32_e64 v9, v18, v22, s3
	v_cmp_le_u32_e64 s3, s24, v10
	v_sub_nc_u32_e32 v8, v8, v13
	s_delay_alu instid0(VALU_DEP_3) | instskip(SKIP_1) | instid1(VALU_DEP_3)
	v_xor_b32_e32 v9, v9, v14
	s_wait_alu 0xf1ff
	v_cndmask_b32_e64 v10, v19, v23, s3
	s_delay_alu instid0(VALU_DEP_2) | instskip(NEXT) | instid1(VALU_DEP_2)
	v_sub_nc_u32_e32 v9, v9, v14
	v_xor_b32_e32 v10, v10, v15
	s_delay_alu instid0(VALU_DEP_1)
	v_sub_nc_u32_e32 v10, v10, v15
	global_store_b128 v[11:12], v[7:10], off
	s_and_not1_b32 exec_lo, exec_lo, s22
	s_cbranch_execnz .LBB62_3
.LBB62_4:
	s_or_b32 exec_lo, exec_lo, s7
	s_mov_b32 s2, 0
.LBB62_5:
	s_wait_alu 0xfffe
	s_and_not1_b32 vcc_lo, exec_lo, s2
	s_wait_alu 0xfffe
	s_cbranch_vccnz .LBB62_25
; %bb.6:
	v_cmp_lt_i64_e64 s2, s[18:19], 1
	s_and_b32 vcc_lo, exec_lo, s2
	s_wait_alu 0xfffe
	s_cbranch_vccnz .LBB62_25
; %bb.7:
	s_load_b32 s0, s[0:1], 0xc6c
	v_cmp_gt_i64_e64 s1, 0x10000, s[18:19]
	v_dual_mov_b32 v2, 0 :: v_dual_lshlrev_b32 v1, 2, v0
	v_cmp_gt_u64_e64 s2, 0x10000, s[18:19]
	s_mov_b32 s5, 0
	s_and_b32 s1, s1, exec_lo
	v_add_co_u32 v5, s1, s16, v1
	v_add_co_u32 v3, s3, s14, v1
	s_cselect_b32 s7, s19, 0
	s_cselect_b32 s6, s18, 0x10000
	v_add_co_ci_u32_e64 v6, null, s17, 0, s1
	v_add_co_ci_u32_e64 v4, null, s15, 0, s3
	s_wait_kmcnt 0x0
	s_and_b32 s0, s0, 0xffff
	s_and_b32 s1, s2, exec_lo
	s_cselect_b32 s19, s19, 0
	s_cselect_b32 s18, s18, 0x10000
	s_wait_alu 0xfffe
	s_mul_i32 s2, s0, 3
	s_lshl_b32 s3, s0, 3
	v_mad_co_u64_u32 v[9:10], null, s0, 12, v[1:2]
	s_wait_alu 0xfffe
	v_add_co_u32 v15, s3, s3, v1
	v_add_co_u32 v1, s2, s2, v0
	s_wait_alu 0xf1ff
	v_add_co_ci_u32_e64 v11, null, 0, 0, s2
	v_add_co_u32 v14, s2, v0, s0
	s_lshl_b32 s1, s0, 1
	v_add_co_u32 v7, vcc_lo, s14, v9
	v_lshlrev_b32_e32 v22, 2, v14
	v_add_co_ci_u32_e64 v16, null, 0, 0, s3
	s_wait_alu 0xfffd
	v_add_co_ci_u32_e64 v8, null, s15, v10, vcc_lo
	v_add_co_u32 v9, vcc_lo, s16, v9
	s_wait_alu 0xfffe
	v_add_co_u32 v18, s1, s1, v0
	s_wait_alu 0xfffd
	v_add_co_ci_u32_e64 v10, null, s17, v10, vcc_lo
	v_add_co_u32 v12, vcc_lo, s14, v15
	s_wait_alu 0xf1ff
	v_add_co_ci_u32_e64 v19, null, 0, 0, s1
	v_add_co_u32 v20, s1, s14, v22
	s_wait_alu 0xfffd
	v_add_co_ci_u32_e64 v13, null, s15, v16, vcc_lo
	v_add_co_u32 v15, vcc_lo, s16, v15
	s_wait_alu 0xf1ff
	v_add_co_ci_u32_e64 v21, null, s15, 0, s1
	v_add_co_u32 v22, s1, s16, v22
	s_wait_alu 0xfffd
	v_add_co_ci_u32_e64 v16, null, s17, v16, vcc_lo
	v_add_co_ci_u32_e64 v17, null, 0, 0, s2
	s_wait_alu 0xf1ff
	v_add_co_ci_u32_e64 v23, null, s17, 0, s1
	s_lshl_b32 s4, s0, 2
	s_lshl_b32 s11, s0, 4
	s_mov_b64 s[14:15], 0
	s_branch .LBB62_9
.LBB62_8:                               ;   in Loop: Header=BB62_9 Depth=1
	s_wait_alu 0xfffe
	s_or_b32 exec_lo, exec_lo, s0
	v_add_co_u32 v3, vcc_lo, v3, s11
	s_wait_alu 0xfffd
	v_add_co_ci_u32_e64 v4, null, 0, v4, vcc_lo
	v_add_co_u32 v5, vcc_lo, v5, s11
	s_wait_alu 0xfffd
	v_add_co_ci_u32_e64 v6, null, 0, v6, vcc_lo
	;; [unrolled: 3-line block ×5, first 2 shown]
	v_add_co_u32 v15, vcc_lo, v15, s11
	s_add_nc_u64 s[14:15], s[14:15], s[4:5]
	s_wait_alu 0xfffd
	v_add_co_ci_u32_e64 v16, null, 0, v16, vcc_lo
	v_add_co_u32 v20, vcc_lo, v20, s11
	s_wait_alu 0xfffe
	v_cmp_ge_i64_e64 s0, s[14:15], s[6:7]
	s_wait_alu 0xfffd
	v_add_co_ci_u32_e64 v21, null, 0, v21, vcc_lo
	v_add_co_u32 v22, vcc_lo, v22, s11
	s_wait_alu 0xfffd
	v_add_co_ci_u32_e64 v23, null, 0, v23, vcc_lo
	s_and_b32 vcc_lo, exec_lo, s0
	s_wait_alu 0xfffe
	s_cbranch_vccnz .LBB62_25
.LBB62_9:                               ; =>This Inner Loop Header: Depth=1
	s_wait_alu 0xfffe
	v_add_co_u32 v24, s0, v0, s14
	s_wait_alu 0xf1ff
	v_add_co_ci_u32_e64 v25, null, 0, s15, s0
	v_mov_b32_e32 v27, 0
	s_delay_alu instid0(VALU_DEP_2)
	v_cmp_gt_u64_e64 s2, s[18:19], v[24:25]
	s_and_saveexec_b32 s0, s2
	s_cbranch_execz .LBB62_11
; %bb.10:                               ;   in Loop: Header=BB62_9 Depth=1
	v_add_co_u32 v24, vcc_lo, v3, s12
	s_wait_alu 0xfffd
	v_add_co_ci_u32_e64 v25, null, s13, v4, vcc_lo
	global_load_b32 v27, v[24:25], off
.LBB62_11:                              ;   in Loop: Header=BB62_9 Depth=1
	s_wait_alu 0xfffe
	s_or_b32 exec_lo, exec_lo, s0
	v_add_co_u32 v24, vcc_lo, v14, s14
	s_wait_alu 0xfffd
	v_add_co_ci_u32_e64 v25, null, s15, v17, vcc_lo
	v_mov_b32_e32 v26, 0
	s_delay_alu instid0(VALU_DEP_2)
	v_cmp_gt_u64_e64 s1, s[18:19], v[24:25]
	v_mov_b32_e32 v24, 0
	s_and_saveexec_b32 s0, s1
	s_cbranch_execz .LBB62_13
; %bb.12:                               ;   in Loop: Header=BB62_9 Depth=1
	v_add_co_u32 v25, vcc_lo, v20, s12
	s_wait_alu 0xfffd
	v_add_co_ci_u32_e64 v26, null, s13, v21, vcc_lo
	global_load_b32 v26, v[25:26], off
.LBB62_13:                              ;   in Loop: Header=BB62_9 Depth=1
	s_wait_alu 0xfffe
	s_or_b32 exec_lo, exec_lo, s0
	v_add_co_u32 v28, vcc_lo, v18, s14
	s_wait_alu 0xfffd
	v_add_co_ci_u32_e64 v29, null, s15, v19, vcc_lo
	s_delay_alu instid0(VALU_DEP_1)
	v_cmp_gt_u64_e64 s0, s[18:19], v[28:29]
	s_and_saveexec_b32 s3, s0
	s_cbranch_execz .LBB62_15
; %bb.14:                               ;   in Loop: Header=BB62_9 Depth=1
	v_add_co_u32 v24, vcc_lo, v12, s12
	s_wait_alu 0xfffd
	v_add_co_ci_u32_e64 v25, null, s13, v13, vcc_lo
	global_load_b32 v24, v[24:25], off
.LBB62_15:                              ;   in Loop: Header=BB62_9 Depth=1
	s_wait_alu 0xfffe
	s_or_b32 exec_lo, exec_lo, s3
	v_add_co_u32 v28, vcc_lo, v1, s14
	s_wait_alu 0xfffd
	v_add_co_ci_u32_e64 v29, null, s15, v11, vcc_lo
	v_mov_b32_e32 v25, 0
	s_delay_alu instid0(VALU_DEP_2)
	v_cmp_gt_u64_e32 vcc_lo, s[18:19], v[28:29]
	s_and_saveexec_b32 s16, vcc_lo
	s_cbranch_execz .LBB62_17
; %bb.16:                               ;   in Loop: Header=BB62_9 Depth=1
	v_add_co_u32 v28, s3, v7, s12
	s_wait_alu 0xf1ff
	v_add_co_ci_u32_e64 v29, null, s13, v8, s3
	global_load_b32 v25, v[28:29], off
.LBB62_17:                              ;   in Loop: Header=BB62_9 Depth=1
	s_wait_alu 0xfffe
	s_or_b32 exec_lo, exec_lo, s16
	global_load_b32 v28, v2, s[8:9]
	s_wait_loadcnt 0x0
	v_readfirstlane_b32 s3, v28
	s_mul_i32 s16, s3, s10
	s_wait_alu 0xfffe
	s_abs_i32 s3, s16
	s_ashr_i32 s16, s16, 31
	s_wait_alu 0xfffe
	s_cvt_f32_u32 s17, s3
	s_sub_co_i32 s20, 0, s3
	s_wait_alu 0xfffe
	s_delay_alu instid0(SALU_CYCLE_1) | instskip(NEXT) | instid1(TRANS32_DEP_1)
	v_rcp_iflag_f32_e32 v28, s17
	v_readfirstlane_b32 s17, v28
	s_mul_f32 s17, s17, 0x4f7ffffe
	s_wait_alu 0xfffe
	s_delay_alu instid0(SALU_CYCLE_2) | instskip(SKIP_1) | instid1(SALU_CYCLE_2)
	s_cvt_u32_f32 s17, s17
	s_wait_alu 0xfffe
	s_mul_i32 s20, s20, s17
	s_wait_alu 0xfffe
	s_mul_hi_u32 s20, s17, s20
	s_wait_alu 0xfffe
	s_add_co_i32 s17, s17, s20
	s_and_saveexec_b32 s20, s2
	s_cbranch_execnz .LBB62_21
; %bb.18:                               ;   in Loop: Header=BB62_9 Depth=1
	s_wait_alu 0xfffe
	s_or_b32 exec_lo, exec_lo, s20
	s_and_saveexec_b32 s2, s1
	s_cbranch_execnz .LBB62_22
.LBB62_19:                              ;   in Loop: Header=BB62_9 Depth=1
	s_wait_alu 0xfffe
	s_or_b32 exec_lo, exec_lo, s2
	s_and_saveexec_b32 s1, s0
	s_cbranch_execnz .LBB62_23
.LBB62_20:                              ;   in Loop: Header=BB62_9 Depth=1
	s_wait_alu 0xfffe
	s_or_b32 exec_lo, exec_lo, s1
	s_and_saveexec_b32 s0, vcc_lo
	s_cbranch_execz .LBB62_8
	s_branch .LBB62_24
.LBB62_21:                              ;   in Loop: Header=BB62_9 Depth=1
	v_sub_nc_u32_e32 v28, 0, v27
	s_delay_alu instid0(VALU_DEP_1) | instskip(SKIP_2) | instid1(VALU_DEP_2)
	v_max_i32_e32 v28, v27, v28
	v_ashrrev_i32_e32 v27, 31, v27
	s_wait_alu 0xfffe
	v_mul_hi_u32 v29, v28, s17
	s_delay_alu instid0(VALU_DEP_1) | instskip(NEXT) | instid1(VALU_DEP_1)
	v_mul_lo_u32 v30, v29, s3
	v_sub_nc_u32_e32 v28, v28, v30
	v_add_nc_u32_e32 v30, 1, v29
	s_delay_alu instid0(VALU_DEP_2) | instskip(SKIP_2) | instid1(VALU_DEP_1)
	v_subrev_nc_u32_e32 v31, s3, v28
	v_cmp_le_u32_e64 s2, s3, v28
	s_wait_alu 0xf1ff
	v_cndmask_b32_e64 v29, v29, v30, s2
	s_delay_alu instid0(VALU_DEP_3) | instskip(SKIP_1) | instid1(VALU_DEP_3)
	v_cndmask_b32_e64 v28, v28, v31, s2
	v_xor_b32_e32 v31, s16, v27
	v_add_nc_u32_e32 v30, 1, v29
	s_delay_alu instid0(VALU_DEP_3) | instskip(SKIP_1) | instid1(VALU_DEP_1)
	v_cmp_le_u32_e64 s2, s3, v28
	s_wait_alu 0xf1ff
	v_cndmask_b32_e64 v27, v29, v30, s2
	s_delay_alu instid0(VALU_DEP_1) | instskip(SKIP_3) | instid1(VALU_DEP_3)
	v_xor_b32_e32 v29, v27, v31
	v_add_co_u32 v27, s2, v5, s12
	s_wait_alu 0xf1ff
	v_add_co_ci_u32_e64 v28, null, s13, v6, s2
	v_sub_nc_u32_e32 v29, v29, v31
	global_store_b32 v[27:28], v29, off
	s_or_b32 exec_lo, exec_lo, s20
	s_and_saveexec_b32 s2, s1
	s_cbranch_execz .LBB62_19
.LBB62_22:                              ;   in Loop: Header=BB62_9 Depth=1
	v_sub_nc_u32_e32 v27, 0, v26
	s_delay_alu instid0(VALU_DEP_1) | instskip(SKIP_1) | instid1(VALU_DEP_2)
	v_max_i32_e32 v27, v26, v27
	v_ashrrev_i32_e32 v26, 31, v26
	v_mul_hi_u32 v28, v27, s17
	s_delay_alu instid0(VALU_DEP_2) | instskip(NEXT) | instid1(VALU_DEP_2)
	v_xor_b32_e32 v26, s16, v26
	v_mul_lo_u32 v29, v28, s3
	s_delay_alu instid0(VALU_DEP_1) | instskip(SKIP_1) | instid1(VALU_DEP_2)
	v_sub_nc_u32_e32 v27, v27, v29
	v_add_nc_u32_e32 v29, 1, v28
	v_subrev_nc_u32_e32 v30, s3, v27
	v_cmp_le_u32_e64 s1, s3, v27
	s_wait_alu 0xf1ff
	s_delay_alu instid0(VALU_DEP_1) | instskip(NEXT) | instid1(VALU_DEP_3)
	v_cndmask_b32_e64 v28, v28, v29, s1
	v_cndmask_b32_e64 v27, v27, v30, s1
	s_delay_alu instid0(VALU_DEP_2) | instskip(NEXT) | instid1(VALU_DEP_2)
	v_add_nc_u32_e32 v29, 1, v28
	v_cmp_le_u32_e64 s1, s3, v27
	s_wait_alu 0xf1ff
	s_delay_alu instid0(VALU_DEP_1) | instskip(NEXT) | instid1(VALU_DEP_1)
	v_cndmask_b32_e64 v27, v28, v29, s1
	v_xor_b32_e32 v27, v27, v26
	s_delay_alu instid0(VALU_DEP_1)
	v_sub_nc_u32_e32 v28, v27, v26
	v_add_co_u32 v26, s1, v22, s12
	s_wait_alu 0xf1ff
	v_add_co_ci_u32_e64 v27, null, s13, v23, s1
	global_store_b32 v[26:27], v28, off
	s_wait_alu 0xfffe
	s_or_b32 exec_lo, exec_lo, s2
	s_and_saveexec_b32 s1, s0
	s_cbranch_execz .LBB62_20
.LBB62_23:                              ;   in Loop: Header=BB62_9 Depth=1
	v_sub_nc_u32_e32 v26, 0, v24
	s_delay_alu instid0(VALU_DEP_1) | instskip(SKIP_1) | instid1(VALU_DEP_2)
	v_max_i32_e32 v26, v24, v26
	v_ashrrev_i32_e32 v24, 31, v24
	v_mul_hi_u32 v27, v26, s17
	s_delay_alu instid0(VALU_DEP_2) | instskip(NEXT) | instid1(VALU_DEP_2)
	v_xor_b32_e32 v24, s16, v24
	v_mul_lo_u32 v28, v27, s3
	s_delay_alu instid0(VALU_DEP_1) | instskip(SKIP_1) | instid1(VALU_DEP_2)
	v_sub_nc_u32_e32 v26, v26, v28
	v_add_nc_u32_e32 v28, 1, v27
	v_subrev_nc_u32_e32 v29, s3, v26
	v_cmp_le_u32_e64 s0, s3, v26
	s_wait_alu 0xf1ff
	s_delay_alu instid0(VALU_DEP_1) | instskip(NEXT) | instid1(VALU_DEP_3)
	v_cndmask_b32_e64 v27, v27, v28, s0
	v_cndmask_b32_e64 v26, v26, v29, s0
	s_delay_alu instid0(VALU_DEP_2) | instskip(NEXT) | instid1(VALU_DEP_2)
	v_add_nc_u32_e32 v28, 1, v27
	v_cmp_le_u32_e64 s0, s3, v26
	s_wait_alu 0xf1ff
	s_delay_alu instid0(VALU_DEP_1) | instskip(NEXT) | instid1(VALU_DEP_1)
	v_cndmask_b32_e64 v26, v27, v28, s0
	v_xor_b32_e32 v26, v26, v24
	s_delay_alu instid0(VALU_DEP_1)
	v_sub_nc_u32_e32 v24, v26, v24
	v_add_co_u32 v26, s0, v15, s12
	s_wait_alu 0xf1ff
	v_add_co_ci_u32_e64 v27, null, s13, v16, s0
	global_store_b32 v[26:27], v24, off
	s_wait_alu 0xfffe
	s_or_b32 exec_lo, exec_lo, s1
	s_and_saveexec_b32 s0, vcc_lo
	s_cbranch_execz .LBB62_8
.LBB62_24:                              ;   in Loop: Header=BB62_9 Depth=1
	v_sub_nc_u32_e32 v24, 0, v25
	s_delay_alu instid0(VALU_DEP_1) | instskip(SKIP_1) | instid1(VALU_DEP_2)
	v_max_i32_e32 v24, v25, v24
	v_ashrrev_i32_e32 v25, 31, v25
	v_mul_hi_u32 v26, v24, s17
	s_delay_alu instid0(VALU_DEP_2) | instskip(NEXT) | instid1(VALU_DEP_2)
	v_xor_b32_e32 v25, s16, v25
	v_mul_lo_u32 v27, v26, s3
	s_delay_alu instid0(VALU_DEP_1) | instskip(NEXT) | instid1(VALU_DEP_1)
	v_sub_nc_u32_e32 v24, v24, v27
	v_subrev_nc_u32_e32 v28, s3, v24
	v_cmp_le_u32_e32 vcc_lo, s3, v24
	s_wait_alu 0xfffd
	s_delay_alu instid0(VALU_DEP_2) | instskip(NEXT) | instid1(VALU_DEP_1)
	v_dual_cndmask_b32 v24, v24, v28 :: v_dual_add_nc_u32 v27, 1, v26
	v_cndmask_b32_e32 v26, v26, v27, vcc_lo
	s_delay_alu instid0(VALU_DEP_2) | instskip(NEXT) | instid1(VALU_DEP_2)
	v_cmp_le_u32_e32 vcc_lo, s3, v24
	v_add_nc_u32_e32 v27, 1, v26
	s_wait_alu 0xfffd
	s_delay_alu instid0(VALU_DEP_1) | instskip(NEXT) | instid1(VALU_DEP_1)
	v_cndmask_b32_e32 v24, v26, v27, vcc_lo
	v_xor_b32_e32 v24, v24, v25
	s_delay_alu instid0(VALU_DEP_1)
	v_sub_nc_u32_e32 v26, v24, v25
	v_add_co_u32 v24, vcc_lo, v9, s12
	s_wait_alu 0xfffd
	v_add_co_ci_u32_e64 v25, null, s13, v10, vcc_lo
	global_store_b32 v[24:25], v26, off
	s_branch .LBB62_8
.LBB62_25:
	s_endpgm
	.section	.rodata,"a",@progbits
	.p2align	6, 0x0
	.amdhsa_kernel _ZN2at6native12_GLOBAL__N_125multi_tensor_apply_kernelINS1_18TensorListMetadataILi2EEENS1_27BinaryOpScalarTensorFunctorIiLi2ELi1ELi1EEEJSt7dividesIiEPiiEEEvT_T0_DpT1_
		.amdhsa_group_segment_fixed_size 0
		.amdhsa_private_segment_fixed_size 0
		.amdhsa_kernarg_size 3424
		.amdhsa_user_sgpr_count 2
		.amdhsa_user_sgpr_dispatch_ptr 0
		.amdhsa_user_sgpr_queue_ptr 0
		.amdhsa_user_sgpr_kernarg_segment_ptr 1
		.amdhsa_user_sgpr_dispatch_id 0
		.amdhsa_user_sgpr_private_segment_size 0
		.amdhsa_wavefront_size32 1
		.amdhsa_uses_dynamic_stack 0
		.amdhsa_enable_private_segment 0
		.amdhsa_system_sgpr_workgroup_id_x 1
		.amdhsa_system_sgpr_workgroup_id_y 0
		.amdhsa_system_sgpr_workgroup_id_z 0
		.amdhsa_system_sgpr_workgroup_info 0
		.amdhsa_system_vgpr_workitem_id 0
		.amdhsa_next_free_vgpr 32
		.amdhsa_next_free_sgpr 25
		.amdhsa_reserve_vcc 1
		.amdhsa_float_round_mode_32 0
		.amdhsa_float_round_mode_16_64 0
		.amdhsa_float_denorm_mode_32 3
		.amdhsa_float_denorm_mode_16_64 3
		.amdhsa_fp16_overflow 0
		.amdhsa_workgroup_processor_mode 1
		.amdhsa_memory_ordered 1
		.amdhsa_forward_progress 1
		.amdhsa_inst_pref_size 22
		.amdhsa_round_robin_scheduling 0
		.amdhsa_exception_fp_ieee_invalid_op 0
		.amdhsa_exception_fp_denorm_src 0
		.amdhsa_exception_fp_ieee_div_zero 0
		.amdhsa_exception_fp_ieee_overflow 0
		.amdhsa_exception_fp_ieee_underflow 0
		.amdhsa_exception_fp_ieee_inexact 0
		.amdhsa_exception_int_div_zero 0
	.end_amdhsa_kernel
	.section	.text._ZN2at6native12_GLOBAL__N_125multi_tensor_apply_kernelINS1_18TensorListMetadataILi2EEENS1_27BinaryOpScalarTensorFunctorIiLi2ELi1ELi1EEEJSt7dividesIiEPiiEEEvT_T0_DpT1_,"axG",@progbits,_ZN2at6native12_GLOBAL__N_125multi_tensor_apply_kernelINS1_18TensorListMetadataILi2EEENS1_27BinaryOpScalarTensorFunctorIiLi2ELi1ELi1EEEJSt7dividesIiEPiiEEEvT_T0_DpT1_,comdat
.Lfunc_end62:
	.size	_ZN2at6native12_GLOBAL__N_125multi_tensor_apply_kernelINS1_18TensorListMetadataILi2EEENS1_27BinaryOpScalarTensorFunctorIiLi2ELi1ELi1EEEJSt7dividesIiEPiiEEEvT_T0_DpT1_, .Lfunc_end62-_ZN2at6native12_GLOBAL__N_125multi_tensor_apply_kernelINS1_18TensorListMetadataILi2EEENS1_27BinaryOpScalarTensorFunctorIiLi2ELi1ELi1EEEJSt7dividesIiEPiiEEEvT_T0_DpT1_
                                        ; -- End function
	.set _ZN2at6native12_GLOBAL__N_125multi_tensor_apply_kernelINS1_18TensorListMetadataILi2EEENS1_27BinaryOpScalarTensorFunctorIiLi2ELi1ELi1EEEJSt7dividesIiEPiiEEEvT_T0_DpT1_.num_vgpr, 32
	.set _ZN2at6native12_GLOBAL__N_125multi_tensor_apply_kernelINS1_18TensorListMetadataILi2EEENS1_27BinaryOpScalarTensorFunctorIiLi2ELi1ELi1EEEJSt7dividesIiEPiiEEEvT_T0_DpT1_.num_agpr, 0
	.set _ZN2at6native12_GLOBAL__N_125multi_tensor_apply_kernelINS1_18TensorListMetadataILi2EEENS1_27BinaryOpScalarTensorFunctorIiLi2ELi1ELi1EEEJSt7dividesIiEPiiEEEvT_T0_DpT1_.numbered_sgpr, 25
	.set _ZN2at6native12_GLOBAL__N_125multi_tensor_apply_kernelINS1_18TensorListMetadataILi2EEENS1_27BinaryOpScalarTensorFunctorIiLi2ELi1ELi1EEEJSt7dividesIiEPiiEEEvT_T0_DpT1_.num_named_barrier, 0
	.set _ZN2at6native12_GLOBAL__N_125multi_tensor_apply_kernelINS1_18TensorListMetadataILi2EEENS1_27BinaryOpScalarTensorFunctorIiLi2ELi1ELi1EEEJSt7dividesIiEPiiEEEvT_T0_DpT1_.private_seg_size, 0
	.set _ZN2at6native12_GLOBAL__N_125multi_tensor_apply_kernelINS1_18TensorListMetadataILi2EEENS1_27BinaryOpScalarTensorFunctorIiLi2ELi1ELi1EEEJSt7dividesIiEPiiEEEvT_T0_DpT1_.uses_vcc, 1
	.set _ZN2at6native12_GLOBAL__N_125multi_tensor_apply_kernelINS1_18TensorListMetadataILi2EEENS1_27BinaryOpScalarTensorFunctorIiLi2ELi1ELi1EEEJSt7dividesIiEPiiEEEvT_T0_DpT1_.uses_flat_scratch, 0
	.set _ZN2at6native12_GLOBAL__N_125multi_tensor_apply_kernelINS1_18TensorListMetadataILi2EEENS1_27BinaryOpScalarTensorFunctorIiLi2ELi1ELi1EEEJSt7dividesIiEPiiEEEvT_T0_DpT1_.has_dyn_sized_stack, 0
	.set _ZN2at6native12_GLOBAL__N_125multi_tensor_apply_kernelINS1_18TensorListMetadataILi2EEENS1_27BinaryOpScalarTensorFunctorIiLi2ELi1ELi1EEEJSt7dividesIiEPiiEEEvT_T0_DpT1_.has_recursion, 0
	.set _ZN2at6native12_GLOBAL__N_125multi_tensor_apply_kernelINS1_18TensorListMetadataILi2EEENS1_27BinaryOpScalarTensorFunctorIiLi2ELi1ELi1EEEJSt7dividesIiEPiiEEEvT_T0_DpT1_.has_indirect_call, 0
	.section	.AMDGPU.csdata,"",@progbits
; Kernel info:
; codeLenInByte = 2752
; TotalNumSgprs: 27
; NumVgprs: 32
; ScratchSize: 0
; MemoryBound: 0
; FloatMode: 240
; IeeeMode: 1
; LDSByteSize: 0 bytes/workgroup (compile time only)
; SGPRBlocks: 0
; VGPRBlocks: 3
; NumSGPRsForWavesPerEU: 27
; NumVGPRsForWavesPerEU: 32
; Occupancy: 16
; WaveLimiterHint : 0
; COMPUTE_PGM_RSRC2:SCRATCH_EN: 0
; COMPUTE_PGM_RSRC2:USER_SGPR: 2
; COMPUTE_PGM_RSRC2:TRAP_HANDLER: 0
; COMPUTE_PGM_RSRC2:TGID_X_EN: 1
; COMPUTE_PGM_RSRC2:TGID_Y_EN: 0
; COMPUTE_PGM_RSRC2:TGID_Z_EN: 0
; COMPUTE_PGM_RSRC2:TIDIG_COMP_CNT: 0
	.section	.text._ZN2at6native12_GLOBAL__N_125multi_tensor_apply_kernelINS1_18TensorListMetadataILi2EEENS1_27BinaryOpScalarTensorFunctorIlLi2ELi1ELi1EEEJSt7dividesIlEPllEEEvT_T0_DpT1_,"axG",@progbits,_ZN2at6native12_GLOBAL__N_125multi_tensor_apply_kernelINS1_18TensorListMetadataILi2EEENS1_27BinaryOpScalarTensorFunctorIlLi2ELi1ELi1EEEJSt7dividesIlEPllEEEvT_T0_DpT1_,comdat
	.globl	_ZN2at6native12_GLOBAL__N_125multi_tensor_apply_kernelINS1_18TensorListMetadataILi2EEENS1_27BinaryOpScalarTensorFunctorIlLi2ELi1ELi1EEEJSt7dividesIlEPllEEEvT_T0_DpT1_ ; -- Begin function _ZN2at6native12_GLOBAL__N_125multi_tensor_apply_kernelINS1_18TensorListMetadataILi2EEENS1_27BinaryOpScalarTensorFunctorIlLi2ELi1ELi1EEEJSt7dividesIlEPllEEEvT_T0_DpT1_
	.p2align	8
	.type	_ZN2at6native12_GLOBAL__N_125multi_tensor_apply_kernelINS1_18TensorListMetadataILi2EEENS1_27BinaryOpScalarTensorFunctorIlLi2ELi1ELi1EEEJSt7dividesIlEPllEEEvT_T0_DpT1_,@function
_ZN2at6native12_GLOBAL__N_125multi_tensor_apply_kernelINS1_18TensorListMetadataILi2EEENS1_27BinaryOpScalarTensorFunctorIlLi2ELi1ELi1EEEJSt7dividesIlEPllEEEvT_T0_DpT1_: ; @_ZN2at6native12_GLOBAL__N_125multi_tensor_apply_kernelINS1_18TensorListMetadataILi2EEENS1_27BinaryOpScalarTensorFunctorIlLi2ELi1ELi1EEEJSt7dividesIlEPllEEEvT_T0_DpT1_
; %bb.0:
	s_mov_b32 s2, ttmp9
	s_mov_b32 s3, 0
	s_delay_alu instid0(SALU_CYCLE_1)
	s_mul_u64 s[4:5], s[2:3], 3
	s_add_nc_u64 s[6:7], s[0:1], s[2:3]
	s_mov_b32 s15, s3
	s_add_nc_u64 s[4:5], s[6:7], s[4:5]
	s_clause 0x1
	s_load_b32 s4, s[4:5], 0x740
	s_load_u8 s2, s[0:1], ttmp9 offset:0x600
	s_mov_b32 s17, s3
	s_wait_kmcnt 0x0
	s_ashr_i32 s5, s4, 31
	s_lshl_b32 s2, s2, 3
	s_clause 0x3
	s_load_b64 s[18:19], s[0:1], s2 offset:0x0
	s_load_b64 s[20:21], s[0:1], s2 offset:0x200
	s_load_b64 s[12:13], s[0:1], s2 offset:0x400
	s_load_b128 s[8:11], s[0:1], 0xc50
	s_lshl_b64 s[6:7], s[4:5], 19
	s_lshl_b64 s[4:5], s[4:5], 16
	s_wait_kmcnt 0x0
	s_add_nc_u64 s[22:23], s[18:19], s[6:7]
	s_and_b32 s14, s20, 31
	s_and_b32 s16, s12, 3
	;; [unrolled: 1-line block ×3, first 2 shown]
	s_or_b64 s[14:15], s[14:15], s[16:17]
	s_delay_alu instid0(SALU_CYCLE_1)
	s_or_b64 s[2:3], s[14:15], s[2:3]
	s_sub_nc_u64 s[14:15], s[12:13], s[4:5]
	s_cmp_eq_u64 s[2:3], 0
	s_mov_b32 s2, -1
	s_cbranch_scc0 .LBB63_21
; %bb.1:
	v_mov_b32_e32 v13, 0
	v_cmp_gt_i64_e64 s2, 0x10000, s[14:15]
	v_lshlrev_b32_e32 v1, 2, v0
	s_mov_b32 s24, exec_lo
	v_mov_b32_e32 v2, v13
	s_and_b32 s2, s2, exec_lo
	s_cselect_b32 s5, s15, 0
	s_cselect_b32 s4, s14, 0x10000
	s_delay_alu instid0(VALU_DEP_1) | instid1(SALU_CYCLE_1)
	v_cmpx_gt_i64_e64 s[4:5], v[1:2]
	s_cbranch_execz .LBB63_20
; %bb.2:
	s_load_b32 s2, s[0:1], 0xc6c
	v_dual_mov_b32 v1, v13 :: v_dual_lshlrev_b32 v2, 5, v0
	s_mov_b32 s27, 0
	s_delay_alu instid0(VALU_DEP_1) | instskip(NEXT) | instid1(VALU_DEP_1)
	v_add_co_u32 v17, s3, s6, v2
	v_add_co_ci_u32_e64 v18, null, s7, 0, s3
	s_delay_alu instid0(VALU_DEP_3) | instskip(SKIP_3) | instid1(SALU_CYCLE_1)
	v_dual_mov_b32 v16, v1 :: v_dual_mov_b32 v15, v0
	s_mov_b32 s3, 0
	s_wait_kmcnt 0x0
	s_and_b32 s25, s2, 0xffff
	s_lshl_b32 s26, s25, 5
	s_branch .LBB63_4
.LBB63_3:                               ;   in Loop: Header=BB63_4 Depth=1
	s_wait_alu 0xfffe
	s_or_b32 exec_lo, exec_lo, s2
	v_add_co_u32 v15, vcc_lo, v15, s25
	s_wait_alu 0xfffd
	v_add_co_ci_u32_e64 v16, null, 0, v16, vcc_lo
	v_add_co_u32 v3, vcc_lo, s20, v17
	s_wait_alu 0xfffd
	v_add_co_ci_u32_e64 v4, null, s21, v18, vcc_lo
	s_delay_alu instid0(VALU_DEP_3)
	v_lshlrev_b64_e32 v[1:2], 2, v[15:16]
	v_add_co_u32 v17, s2, v17, s26
	s_wait_alu 0xf1ff
	v_add_co_ci_u32_e64 v18, null, 0, v18, s2
	s_clause 0x1
	global_store_b128 v[3:4], v[5:8], off
	global_store_b128 v[3:4], v[9:12], off offset:16
	v_cmp_le_i64_e32 vcc_lo, s[4:5], v[1:2]
	s_or_b32 s27, vcc_lo, s27
	s_wait_alu 0xfffe
	s_and_not1_b32 exec_lo, exec_lo, s27
	s_cbranch_execz .LBB63_20
.LBB63_4:                               ; =>This Inner Loop Header: Depth=1
	global_load_b64 v[5:6], v13, s[8:9]
	v_add_co_u32 v1, vcc_lo, s18, v17
	s_wait_alu 0xfffd
	v_add_co_ci_u32_e64 v2, null, s19, v18, vcc_lo
	s_mov_b32 s2, exec_lo
	s_clause 0x1
	global_load_b128 v[7:10], v[1:2], off
	global_load_b128 v[1:4], v[1:2], off offset:16
	s_wait_loadcnt 0x2
	v_readfirstlane_b32 s12, v5
	v_readfirstlane_b32 s13, v6
                                        ; implicit-def: $vgpr5_vgpr6
	s_mul_u64 s[12:13], s[12:13], s[10:11]
	s_wait_loadcnt 0x1
	s_wait_alu 0xfffe
	v_or_b32_e32 v14, s13, v8
	s_delay_alu instid0(VALU_DEP_1)
	v_cmpx_ne_u64_e32 0, v[13:14]
	s_xor_b32 s28, exec_lo, s2
	s_cbranch_execz .LBB63_6
; %bb.5:                                ;   in Loop: Header=BB63_4 Depth=1
	s_ashr_i32 s16, s13, 31
	v_ashrrev_i32_e32 v14, 31, v8
	s_wait_alu 0xfffe
	s_mov_b32 s17, s16
	s_wait_alu 0xfffe
	s_add_nc_u64 s[22:23], s[12:13], s[16:17]
	v_add_co_u32 v5, vcc_lo, v7, v14
	s_wait_alu 0xfffe
	s_xor_b64 s[22:23], s[22:23], s[16:17]
	s_wait_alu 0xfffd
	v_add_co_ci_u32_e64 v6, null, v8, v14, vcc_lo
	s_wait_alu 0xfffe
	s_cvt_f32_u32 s2, s22
	s_cvt_f32_u32 s17, s23
	s_sub_nc_u64 s[34:35], 0, s[22:23]
	v_xor_b32_e32 v19, v5, v14
	v_xor_b32_e32 v20, v6, v14
	s_wait_alu 0xfffe
	s_fmamk_f32 s2, s17, 0x4f800000, s2
	s_wait_alu 0xfffe
	s_delay_alu instid0(SALU_CYCLE_2) | instskip(NEXT) | instid1(TRANS32_DEP_1)
	v_s_rcp_f32 s2, s2
	s_mul_f32 s2, s2, 0x5f7ffffc
	s_wait_alu 0xfffe
	s_delay_alu instid0(SALU_CYCLE_2) | instskip(SKIP_1) | instid1(SALU_CYCLE_2)
	s_mul_f32 s17, s2, 0x2f800000
	s_wait_alu 0xfffe
	s_trunc_f32 s17, s17
	s_wait_alu 0xfffe
	s_delay_alu instid0(SALU_CYCLE_2) | instskip(SKIP_2) | instid1(SALU_CYCLE_1)
	s_fmamk_f32 s2, s17, 0xcf800000, s2
	s_cvt_u32_f32 s31, s17
	s_wait_alu 0xfffe
	s_cvt_u32_f32 s30, s2
	s_delay_alu instid0(SALU_CYCLE_3) | instskip(NEXT) | instid1(SALU_CYCLE_1)
	s_mul_u64 s[36:37], s[34:35], s[30:31]
	s_mul_hi_u32 s39, s30, s37
	s_mul_i32 s38, s30, s37
	s_mul_hi_u32 s2, s30, s36
	s_mul_i32 s29, s31, s36
	s_wait_alu 0xfffe
	s_add_nc_u64 s[38:39], s[2:3], s[38:39]
	s_mul_hi_u32 s17, s31, s36
	s_mul_hi_u32 s33, s31, s37
	s_add_co_u32 s2, s38, s29
	s_wait_alu 0xfffe
	s_add_co_ci_u32 s2, s39, s17
	s_mul_i32 s36, s31, s37
	s_add_co_ci_u32 s37, s33, 0
	s_wait_alu 0xfffe
	s_add_nc_u64 s[36:37], s[2:3], s[36:37]
	s_delay_alu instid0(SALU_CYCLE_1) | instskip(SKIP_4) | instid1(SALU_CYCLE_1)
	s_add_co_u32 s30, s30, s36
	s_cselect_b32 s2, -1, 0
	s_wait_alu 0xfffe
	s_cmp_lg_u32 s2, 0
	s_add_co_ci_u32 s31, s31, s37
	s_mul_u64 s[34:35], s[34:35], s[30:31]
	s_delay_alu instid0(SALU_CYCLE_1)
	s_mul_hi_u32 s37, s30, s35
	s_mul_i32 s36, s30, s35
	s_mul_hi_u32 s2, s30, s34
	s_mul_i32 s29, s31, s34
	s_wait_alu 0xfffe
	s_add_nc_u64 s[36:37], s[2:3], s[36:37]
	s_mul_hi_u32 s17, s31, s34
	s_mul_hi_u32 s33, s31, s35
	s_add_co_u32 s2, s36, s29
	s_wait_alu 0xfffe
	s_add_co_ci_u32 s2, s37, s17
	s_mul_i32 s34, s31, s35
	s_add_co_ci_u32 s35, s33, 0
	s_wait_alu 0xfffe
	s_add_nc_u64 s[34:35], s[2:3], s[34:35]
	s_delay_alu instid0(SALU_CYCLE_1)
	s_add_co_u32 s2, s30, s34
	s_cselect_b32 s17, -1, 0
	s_wait_alu 0xfffe
	v_mul_hi_u32 v21, v19, s2
	s_cmp_lg_u32 s17, 0
	v_mad_co_u64_u32 v[7:8], null, v20, s2, 0
	s_add_co_ci_u32 s17, s31, s35
	s_wait_alu 0xfffe
	v_mad_co_u64_u32 v[5:6], null, v19, s17, 0
	v_mad_co_u64_u32 v[11:12], null, v20, s17, 0
	s_delay_alu instid0(VALU_DEP_2) | instskip(SKIP_1) | instid1(VALU_DEP_3)
	v_add_co_u32 v5, vcc_lo, v21, v5
	s_wait_alu 0xfffd
	v_add_co_ci_u32_e64 v6, null, 0, v6, vcc_lo
	s_delay_alu instid0(VALU_DEP_2) | instskip(SKIP_1) | instid1(VALU_DEP_2)
	v_add_co_u32 v5, vcc_lo, v5, v7
	s_wait_alu 0xfffd
	v_add_co_ci_u32_e32 v5, vcc_lo, v6, v8, vcc_lo
	s_wait_alu 0xfffd
	v_add_co_ci_u32_e32 v6, vcc_lo, 0, v12, vcc_lo
	s_delay_alu instid0(VALU_DEP_2) | instskip(SKIP_1) | instid1(VALU_DEP_2)
	v_add_co_u32 v7, vcc_lo, v5, v11
	s_wait_alu 0xfffd
	v_add_co_ci_u32_e64 v8, null, 0, v6, vcc_lo
	s_delay_alu instid0(VALU_DEP_2) | instskip(SKIP_1) | instid1(VALU_DEP_3)
	v_mul_lo_u32 v11, s23, v7
	v_mad_co_u64_u32 v[5:6], null, s22, v7, 0
	v_mul_lo_u32 v12, s22, v8
	s_delay_alu instid0(VALU_DEP_2) | instskip(NEXT) | instid1(VALU_DEP_2)
	v_sub_co_u32 v5, vcc_lo, v19, v5
	v_add3_u32 v6, v6, v12, v11
	v_add_co_u32 v12, s2, v7, 2
	s_wait_alu 0xf1ff
	v_add_co_ci_u32_e64 v19, null, 0, v8, s2
	s_delay_alu instid0(VALU_DEP_3) | instskip(SKIP_3) | instid1(VALU_DEP_3)
	v_sub_nc_u32_e32 v11, v20, v6
	v_sub_co_u32 v21, s2, v5, s22
	s_wait_alu 0xfffd
	v_sub_co_ci_u32_e64 v6, null, v20, v6, vcc_lo
	v_subrev_co_ci_u32_e64 v11, null, s23, v11, vcc_lo
	s_delay_alu instid0(VALU_DEP_3) | instskip(SKIP_1) | instid1(VALU_DEP_2)
	v_cmp_le_u32_e32 vcc_lo, s22, v21
	s_wait_alu 0xf1ff
	v_subrev_co_ci_u32_e64 v11, null, 0, v11, s2
	s_wait_alu 0xfffd
	v_cndmask_b32_e64 v20, 0, -1, vcc_lo
	s_delay_alu instid0(VALU_DEP_2)
	v_cmp_le_u32_e32 vcc_lo, s23, v11
	s_wait_alu 0xfffd
	v_cndmask_b32_e64 v21, 0, -1, vcc_lo
	v_cmp_le_u32_e32 vcc_lo, s22, v5
	s_wait_alu 0xfffd
	v_cndmask_b32_e64 v5, 0, -1, vcc_lo
	;; [unrolled: 3-line block ×3, first 2 shown]
	v_cmp_eq_u32_e32 vcc_lo, s23, v11
	s_wait_alu 0xfffd
	v_cndmask_b32_e32 v11, v21, v20, vcc_lo
	v_add_co_u32 v20, vcc_lo, v7, 1
	s_wait_alu 0xfffd
	v_add_co_ci_u32_e64 v21, null, 0, v8, vcc_lo
	v_cmp_eq_u32_e32 vcc_lo, s23, v6
	s_wait_alu 0xfffd
	v_cndmask_b32_e32 v5, v22, v5, vcc_lo
	v_cmp_ne_u32_e32 vcc_lo, 0, v11
	v_xor_b32_e32 v11, s16, v14
	s_wait_alu 0xfffd
	v_cndmask_b32_e32 v6, v21, v19, vcc_lo
	v_cmp_ne_u32_e64 s2, 0, v5
	v_cndmask_b32_e32 v5, v20, v12, vcc_lo
	s_wait_alu 0xf1ff
	s_delay_alu instid0(VALU_DEP_2) | instskip(NEXT) | instid1(VALU_DEP_2)
	v_cndmask_b32_e64 v6, v8, v6, s2
	v_cndmask_b32_e64 v5, v7, v5, s2
	s_delay_alu instid0(VALU_DEP_2) | instskip(NEXT) | instid1(VALU_DEP_2)
	v_xor_b32_e32 v6, v6, v11
	v_xor_b32_e32 v5, v5, v11
	s_delay_alu instid0(VALU_DEP_1) | instskip(SKIP_1) | instid1(VALU_DEP_3)
	v_sub_co_u32 v5, vcc_lo, v5, v11
	s_wait_alu 0xfffd
	v_sub_co_ci_u32_e64 v6, null, v6, v11, vcc_lo
.LBB63_6:                               ;   in Loop: Header=BB63_4 Depth=1
	s_and_not1_saveexec_b32 s2, s28
	s_cbranch_execz .LBB63_8
; %bb.7:                                ;   in Loop: Header=BB63_4 Depth=1
	v_cvt_f32_u32_e32 v5, s12
	s_sub_co_i32 s16, 0, s12
	s_delay_alu instid0(VALU_DEP_1) | instskip(NEXT) | instid1(TRANS32_DEP_1)
	v_rcp_iflag_f32_e32 v5, v5
	v_mul_f32_e32 v5, 0x4f7ffffe, v5
	s_delay_alu instid0(VALU_DEP_1) | instskip(SKIP_1) | instid1(VALU_DEP_1)
	v_cvt_u32_f32_e32 v5, v5
	s_wait_alu 0xfffe
	v_mul_lo_u32 v6, s16, v5
	s_delay_alu instid0(VALU_DEP_1) | instskip(NEXT) | instid1(VALU_DEP_1)
	v_mul_hi_u32 v6, v5, v6
	v_add_nc_u32_e32 v5, v5, v6
	s_delay_alu instid0(VALU_DEP_1) | instskip(NEXT) | instid1(VALU_DEP_1)
	v_mul_hi_u32 v5, v7, v5
	v_mul_lo_u32 v6, v5, s12
	s_delay_alu instid0(VALU_DEP_1) | instskip(SKIP_1) | instid1(VALU_DEP_2)
	v_sub_nc_u32_e32 v6, v7, v6
	v_add_nc_u32_e32 v7, 1, v5
	v_subrev_nc_u32_e32 v8, s12, v6
	v_cmp_le_u32_e32 vcc_lo, s12, v6
	s_wait_alu 0xfffd
	s_delay_alu instid0(VALU_DEP_2) | instskip(NEXT) | instid1(VALU_DEP_1)
	v_dual_cndmask_b32 v6, v6, v8 :: v_dual_cndmask_b32 v5, v5, v7
	v_cmp_le_u32_e32 vcc_lo, s12, v6
	s_delay_alu instid0(VALU_DEP_2) | instskip(SKIP_1) | instid1(VALU_DEP_1)
	v_dual_mov_b32 v6, v13 :: v_dual_add_nc_u32 v7, 1, v5
	s_wait_alu 0xfffd
	v_cndmask_b32_e32 v5, v5, v7, vcc_lo
.LBB63_8:                               ;   in Loop: Header=BB63_4 Depth=1
	s_wait_alu 0xfffe
	s_or_b32 exec_lo, exec_lo, s2
	v_or_b32_e32 v14, s13, v10
	s_mov_b32 s2, exec_lo
	s_delay_alu instid0(VALU_DEP_1)
	v_cmpx_ne_u64_e32 0, v[13:14]
	s_wait_alu 0xfffe
	s_xor_b32 s28, exec_lo, s2
	s_cbranch_execz .LBB63_10
; %bb.9:                                ;   in Loop: Header=BB63_4 Depth=1
	s_ashr_i32 s16, s13, 31
	v_ashrrev_i32_e32 v14, 31, v10
	s_wait_alu 0xfffe
	s_mov_b32 s17, s16
	s_wait_alu 0xfffe
	s_add_nc_u64 s[22:23], s[12:13], s[16:17]
	v_add_co_u32 v7, vcc_lo, v9, v14
	s_wait_alu 0xfffe
	s_xor_b64 s[22:23], s[22:23], s[16:17]
	s_wait_alu 0xfffd
	v_add_co_ci_u32_e64 v8, null, v10, v14, vcc_lo
	s_wait_alu 0xfffe
	s_cvt_f32_u32 s2, s22
	s_cvt_f32_u32 s17, s23
	s_sub_nc_u64 s[34:35], 0, s[22:23]
	v_xor_b32_e32 v19, v7, v14
	v_xor_b32_e32 v20, v8, v14
	s_wait_alu 0xfffe
	s_fmamk_f32 s2, s17, 0x4f800000, s2
	s_wait_alu 0xfffe
	s_delay_alu instid0(SALU_CYCLE_2) | instskip(NEXT) | instid1(TRANS32_DEP_1)
	v_s_rcp_f32 s2, s2
	s_mul_f32 s2, s2, 0x5f7ffffc
	s_wait_alu 0xfffe
	s_delay_alu instid0(SALU_CYCLE_2) | instskip(SKIP_1) | instid1(SALU_CYCLE_2)
	s_mul_f32 s17, s2, 0x2f800000
	s_wait_alu 0xfffe
	s_trunc_f32 s17, s17
	s_wait_alu 0xfffe
	s_delay_alu instid0(SALU_CYCLE_2) | instskip(SKIP_2) | instid1(SALU_CYCLE_1)
	s_fmamk_f32 s2, s17, 0xcf800000, s2
	s_cvt_u32_f32 s31, s17
	s_wait_alu 0xfffe
	s_cvt_u32_f32 s30, s2
	s_delay_alu instid0(SALU_CYCLE_3) | instskip(NEXT) | instid1(SALU_CYCLE_1)
	s_mul_u64 s[36:37], s[34:35], s[30:31]
	s_mul_hi_u32 s39, s30, s37
	s_mul_i32 s38, s30, s37
	s_mul_hi_u32 s2, s30, s36
	s_mul_i32 s29, s31, s36
	s_wait_alu 0xfffe
	s_add_nc_u64 s[38:39], s[2:3], s[38:39]
	s_mul_hi_u32 s17, s31, s36
	s_mul_hi_u32 s33, s31, s37
	s_add_co_u32 s2, s38, s29
	s_wait_alu 0xfffe
	s_add_co_ci_u32 s2, s39, s17
	s_mul_i32 s36, s31, s37
	s_add_co_ci_u32 s37, s33, 0
	s_wait_alu 0xfffe
	s_add_nc_u64 s[36:37], s[2:3], s[36:37]
	s_delay_alu instid0(SALU_CYCLE_1) | instskip(SKIP_4) | instid1(SALU_CYCLE_1)
	s_add_co_u32 s30, s30, s36
	s_cselect_b32 s2, -1, 0
	s_wait_alu 0xfffe
	s_cmp_lg_u32 s2, 0
	s_add_co_ci_u32 s31, s31, s37
	s_mul_u64 s[34:35], s[34:35], s[30:31]
	s_delay_alu instid0(SALU_CYCLE_1)
	s_mul_hi_u32 s37, s30, s35
	s_mul_i32 s36, s30, s35
	s_mul_hi_u32 s2, s30, s34
	s_mul_i32 s29, s31, s34
	s_wait_alu 0xfffe
	s_add_nc_u64 s[36:37], s[2:3], s[36:37]
	s_mul_hi_u32 s17, s31, s34
	s_mul_hi_u32 s33, s31, s35
	s_add_co_u32 s2, s36, s29
	s_wait_alu 0xfffe
	s_add_co_ci_u32 s2, s37, s17
	s_mul_i32 s34, s31, s35
	s_add_co_ci_u32 s35, s33, 0
	s_wait_alu 0xfffe
	s_add_nc_u64 s[34:35], s[2:3], s[34:35]
	s_delay_alu instid0(SALU_CYCLE_1)
	s_add_co_u32 s2, s30, s34
	s_cselect_b32 s17, -1, 0
	s_wait_alu 0xfffe
	v_mul_hi_u32 v21, v19, s2
	s_cmp_lg_u32 s17, 0
	v_mad_co_u64_u32 v[9:10], null, v20, s2, 0
	s_add_co_ci_u32 s17, s31, s35
	s_wait_alu 0xfffe
	v_mad_co_u64_u32 v[7:8], null, v19, s17, 0
	v_mad_co_u64_u32 v[11:12], null, v20, s17, 0
	s_delay_alu instid0(VALU_DEP_2) | instskip(SKIP_1) | instid1(VALU_DEP_3)
	v_add_co_u32 v7, vcc_lo, v21, v7
	s_wait_alu 0xfffd
	v_add_co_ci_u32_e64 v8, null, 0, v8, vcc_lo
	s_delay_alu instid0(VALU_DEP_2) | instskip(SKIP_1) | instid1(VALU_DEP_2)
	v_add_co_u32 v7, vcc_lo, v7, v9
	s_wait_alu 0xfffd
	v_add_co_ci_u32_e32 v7, vcc_lo, v8, v10, vcc_lo
	s_wait_alu 0xfffd
	v_add_co_ci_u32_e32 v8, vcc_lo, 0, v12, vcc_lo
	s_delay_alu instid0(VALU_DEP_2) | instskip(SKIP_1) | instid1(VALU_DEP_2)
	v_add_co_u32 v9, vcc_lo, v7, v11
	s_wait_alu 0xfffd
	v_add_co_ci_u32_e64 v10, null, 0, v8, vcc_lo
	s_delay_alu instid0(VALU_DEP_2) | instskip(SKIP_1) | instid1(VALU_DEP_3)
	v_mul_lo_u32 v11, s23, v9
	v_mad_co_u64_u32 v[7:8], null, s22, v9, 0
	v_mul_lo_u32 v12, s22, v10
	s_delay_alu instid0(VALU_DEP_2) | instskip(NEXT) | instid1(VALU_DEP_2)
	v_sub_co_u32 v7, vcc_lo, v19, v7
	v_add3_u32 v8, v8, v12, v11
	v_add_co_u32 v12, s2, v9, 2
	s_wait_alu 0xf1ff
	v_add_co_ci_u32_e64 v19, null, 0, v10, s2
	s_delay_alu instid0(VALU_DEP_3) | instskip(SKIP_3) | instid1(VALU_DEP_3)
	v_sub_nc_u32_e32 v11, v20, v8
	v_sub_co_u32 v21, s2, v7, s22
	s_wait_alu 0xfffd
	v_sub_co_ci_u32_e64 v8, null, v20, v8, vcc_lo
	v_subrev_co_ci_u32_e64 v11, null, s23, v11, vcc_lo
	s_delay_alu instid0(VALU_DEP_3) | instskip(SKIP_1) | instid1(VALU_DEP_2)
	v_cmp_le_u32_e32 vcc_lo, s22, v21
	s_wait_alu 0xf1ff
	v_subrev_co_ci_u32_e64 v11, null, 0, v11, s2
	s_wait_alu 0xfffd
	v_cndmask_b32_e64 v20, 0, -1, vcc_lo
	s_delay_alu instid0(VALU_DEP_2)
	v_cmp_le_u32_e32 vcc_lo, s23, v11
	s_wait_alu 0xfffd
	v_cndmask_b32_e64 v21, 0, -1, vcc_lo
	v_cmp_le_u32_e32 vcc_lo, s22, v7
	s_wait_alu 0xfffd
	v_cndmask_b32_e64 v7, 0, -1, vcc_lo
	;; [unrolled: 3-line block ×3, first 2 shown]
	v_cmp_eq_u32_e32 vcc_lo, s23, v11
	s_wait_alu 0xfffd
	v_cndmask_b32_e32 v11, v21, v20, vcc_lo
	v_add_co_u32 v20, vcc_lo, v9, 1
	s_wait_alu 0xfffd
	v_add_co_ci_u32_e64 v21, null, 0, v10, vcc_lo
	v_cmp_eq_u32_e32 vcc_lo, s23, v8
	s_wait_alu 0xfffd
	v_cndmask_b32_e32 v7, v22, v7, vcc_lo
	v_cmp_ne_u32_e32 vcc_lo, 0, v11
	v_xor_b32_e32 v11, s16, v14
	s_delay_alu instid0(VALU_DEP_3) | instskip(SKIP_3) | instid1(VALU_DEP_1)
	v_cmp_ne_u32_e64 s2, 0, v7
	s_wait_alu 0xfffd
	v_dual_cndmask_b32 v8, v21, v19 :: v_dual_cndmask_b32 v7, v20, v12
	s_wait_alu 0xf1ff
	v_cndmask_b32_e64 v8, v10, v8, s2
	s_delay_alu instid0(VALU_DEP_2) | instskip(NEXT) | instid1(VALU_DEP_2)
	v_cndmask_b32_e64 v7, v9, v7, s2
                                        ; implicit-def: $vgpr9_vgpr10
	v_xor_b32_e32 v8, v8, v11
	s_delay_alu instid0(VALU_DEP_2) | instskip(NEXT) | instid1(VALU_DEP_1)
	v_xor_b32_e32 v7, v7, v11
	v_sub_co_u32 v7, vcc_lo, v7, v11
	s_wait_alu 0xfffd
	s_delay_alu instid0(VALU_DEP_3)
	v_sub_co_ci_u32_e64 v8, null, v8, v11, vcc_lo
.LBB63_10:                              ;   in Loop: Header=BB63_4 Depth=1
	s_and_not1_saveexec_b32 s2, s28
	s_cbranch_execz .LBB63_12
; %bb.11:                               ;   in Loop: Header=BB63_4 Depth=1
	v_cvt_f32_u32_e32 v7, s12
	s_sub_co_i32 s16, 0, s12
	s_delay_alu instid0(VALU_DEP_1) | instskip(NEXT) | instid1(TRANS32_DEP_1)
	v_rcp_iflag_f32_e32 v7, v7
	v_mul_f32_e32 v7, 0x4f7ffffe, v7
	s_delay_alu instid0(VALU_DEP_1) | instskip(SKIP_1) | instid1(VALU_DEP_1)
	v_cvt_u32_f32_e32 v7, v7
	s_wait_alu 0xfffe
	v_mul_lo_u32 v8, s16, v7
	s_delay_alu instid0(VALU_DEP_1) | instskip(NEXT) | instid1(VALU_DEP_1)
	v_mul_hi_u32 v8, v7, v8
	v_add_nc_u32_e32 v7, v7, v8
	s_delay_alu instid0(VALU_DEP_1) | instskip(NEXT) | instid1(VALU_DEP_1)
	v_mul_hi_u32 v7, v9, v7
	v_mul_lo_u32 v8, v7, s12
	s_delay_alu instid0(VALU_DEP_1) | instskip(SKIP_1) | instid1(VALU_DEP_2)
	v_sub_nc_u32_e32 v8, v9, v8
	v_add_nc_u32_e32 v9, 1, v7
	v_subrev_nc_u32_e32 v10, s12, v8
	v_cmp_le_u32_e32 vcc_lo, s12, v8
	s_wait_alu 0xfffd
	s_delay_alu instid0(VALU_DEP_2) | instskip(NEXT) | instid1(VALU_DEP_1)
	v_dual_cndmask_b32 v8, v8, v10 :: v_dual_cndmask_b32 v7, v7, v9
	v_cmp_le_u32_e32 vcc_lo, s12, v8
	s_delay_alu instid0(VALU_DEP_2) | instskip(SKIP_1) | instid1(VALU_DEP_1)
	v_dual_mov_b32 v8, v13 :: v_dual_add_nc_u32 v9, 1, v7
	s_wait_alu 0xfffd
	v_cndmask_b32_e32 v7, v7, v9, vcc_lo
.LBB63_12:                              ;   in Loop: Header=BB63_4 Depth=1
	s_wait_alu 0xfffe
	s_or_b32 exec_lo, exec_lo, s2
	s_wait_loadcnt 0x0
	v_or_b32_e32 v14, s13, v2
                                        ; implicit-def: $vgpr9_vgpr10
	s_mov_b32 s2, exec_lo
	s_delay_alu instid0(VALU_DEP_1)
	v_cmpx_ne_u64_e32 0, v[13:14]
	s_wait_alu 0xfffe
	s_xor_b32 s28, exec_lo, s2
	s_cbranch_execz .LBB63_14
; %bb.13:                               ;   in Loop: Header=BB63_4 Depth=1
	s_ashr_i32 s16, s13, 31
	v_ashrrev_i32_e32 v14, 31, v2
	s_wait_alu 0xfffe
	s_mov_b32 s17, s16
	s_wait_alu 0xfffe
	s_add_nc_u64 s[22:23], s[12:13], s[16:17]
	v_add_co_u32 v1, vcc_lo, v1, v14
	s_wait_alu 0xfffe
	s_xor_b64 s[22:23], s[22:23], s[16:17]
	s_wait_alu 0xfffd
	v_add_co_ci_u32_e64 v2, null, v2, v14, vcc_lo
	s_wait_alu 0xfffe
	s_cvt_f32_u32 s2, s22
	s_cvt_f32_u32 s17, s23
	s_sub_nc_u64 s[34:35], 0, s[22:23]
	v_xor_b32_e32 v19, v1, v14
	v_xor_b32_e32 v20, v2, v14
	s_wait_alu 0xfffe
	s_fmamk_f32 s2, s17, 0x4f800000, s2
	s_wait_alu 0xfffe
	s_delay_alu instid0(SALU_CYCLE_2) | instskip(NEXT) | instid1(TRANS32_DEP_1)
	v_s_rcp_f32 s2, s2
	s_mul_f32 s2, s2, 0x5f7ffffc
	s_wait_alu 0xfffe
	s_delay_alu instid0(SALU_CYCLE_2) | instskip(SKIP_1) | instid1(SALU_CYCLE_2)
	s_mul_f32 s17, s2, 0x2f800000
	s_wait_alu 0xfffe
	s_trunc_f32 s17, s17
	s_wait_alu 0xfffe
	s_delay_alu instid0(SALU_CYCLE_2) | instskip(SKIP_2) | instid1(SALU_CYCLE_1)
	s_fmamk_f32 s2, s17, 0xcf800000, s2
	s_cvt_u32_f32 s31, s17
	s_wait_alu 0xfffe
	s_cvt_u32_f32 s30, s2
	s_delay_alu instid0(SALU_CYCLE_3) | instskip(NEXT) | instid1(SALU_CYCLE_1)
	s_mul_u64 s[36:37], s[34:35], s[30:31]
	s_mul_hi_u32 s39, s30, s37
	s_mul_i32 s38, s30, s37
	s_mul_hi_u32 s2, s30, s36
	s_mul_i32 s29, s31, s36
	s_wait_alu 0xfffe
	s_add_nc_u64 s[38:39], s[2:3], s[38:39]
	s_mul_hi_u32 s17, s31, s36
	s_mul_hi_u32 s33, s31, s37
	s_add_co_u32 s2, s38, s29
	s_wait_alu 0xfffe
	s_add_co_ci_u32 s2, s39, s17
	s_mul_i32 s36, s31, s37
	s_add_co_ci_u32 s37, s33, 0
	s_wait_alu 0xfffe
	s_add_nc_u64 s[36:37], s[2:3], s[36:37]
	s_delay_alu instid0(SALU_CYCLE_1) | instskip(SKIP_4) | instid1(SALU_CYCLE_1)
	s_add_co_u32 s30, s30, s36
	s_cselect_b32 s2, -1, 0
	s_wait_alu 0xfffe
	s_cmp_lg_u32 s2, 0
	s_add_co_ci_u32 s31, s31, s37
	s_mul_u64 s[34:35], s[34:35], s[30:31]
	s_delay_alu instid0(SALU_CYCLE_1)
	s_mul_hi_u32 s37, s30, s35
	s_mul_i32 s36, s30, s35
	s_mul_hi_u32 s2, s30, s34
	s_mul_i32 s29, s31, s34
	s_wait_alu 0xfffe
	s_add_nc_u64 s[36:37], s[2:3], s[36:37]
	s_mul_hi_u32 s17, s31, s34
	s_mul_hi_u32 s33, s31, s35
	s_add_co_u32 s2, s36, s29
	s_wait_alu 0xfffe
	s_add_co_ci_u32 s2, s37, s17
	s_mul_i32 s34, s31, s35
	s_add_co_ci_u32 s35, s33, 0
	s_wait_alu 0xfffe
	s_add_nc_u64 s[34:35], s[2:3], s[34:35]
	s_delay_alu instid0(SALU_CYCLE_1)
	s_add_co_u32 s2, s30, s34
	s_cselect_b32 s17, -1, 0
	s_wait_alu 0xfffe
	v_mul_hi_u32 v21, v19, s2
	s_cmp_lg_u32 s17, 0
	v_mad_co_u64_u32 v[9:10], null, v20, s2, 0
	s_add_co_ci_u32 s17, s31, s35
	s_wait_alu 0xfffe
	v_mad_co_u64_u32 v[1:2], null, v19, s17, 0
	v_mad_co_u64_u32 v[11:12], null, v20, s17, 0
	s_delay_alu instid0(VALU_DEP_2) | instskip(SKIP_1) | instid1(VALU_DEP_3)
	v_add_co_u32 v1, vcc_lo, v21, v1
	s_wait_alu 0xfffd
	v_add_co_ci_u32_e64 v2, null, 0, v2, vcc_lo
	s_delay_alu instid0(VALU_DEP_2) | instskip(SKIP_1) | instid1(VALU_DEP_2)
	v_add_co_u32 v1, vcc_lo, v1, v9
	s_wait_alu 0xfffd
	v_add_co_ci_u32_e32 v1, vcc_lo, v2, v10, vcc_lo
	s_wait_alu 0xfffd
	v_add_co_ci_u32_e32 v2, vcc_lo, 0, v12, vcc_lo
	s_delay_alu instid0(VALU_DEP_2) | instskip(SKIP_1) | instid1(VALU_DEP_2)
	v_add_co_u32 v9, vcc_lo, v1, v11
	s_wait_alu 0xfffd
	v_add_co_ci_u32_e64 v10, null, 0, v2, vcc_lo
	s_delay_alu instid0(VALU_DEP_2) | instskip(SKIP_1) | instid1(VALU_DEP_3)
	v_mul_lo_u32 v11, s23, v9
	v_mad_co_u64_u32 v[1:2], null, s22, v9, 0
	v_mul_lo_u32 v12, s22, v10
	s_delay_alu instid0(VALU_DEP_2) | instskip(NEXT) | instid1(VALU_DEP_2)
	v_sub_co_u32 v1, vcc_lo, v19, v1
	v_add3_u32 v2, v2, v12, v11
	v_add_co_u32 v12, s2, v9, 2
	s_wait_alu 0xf1ff
	v_add_co_ci_u32_e64 v19, null, 0, v10, s2
	s_delay_alu instid0(VALU_DEP_3) | instskip(SKIP_3) | instid1(VALU_DEP_3)
	v_sub_nc_u32_e32 v11, v20, v2
	v_sub_co_u32 v21, s2, v1, s22
	s_wait_alu 0xfffd
	v_sub_co_ci_u32_e64 v2, null, v20, v2, vcc_lo
	v_subrev_co_ci_u32_e64 v11, null, s23, v11, vcc_lo
	s_delay_alu instid0(VALU_DEP_3) | instskip(SKIP_1) | instid1(VALU_DEP_2)
	v_cmp_le_u32_e32 vcc_lo, s22, v21
	s_wait_alu 0xf1ff
	v_subrev_co_ci_u32_e64 v11, null, 0, v11, s2
	s_wait_alu 0xfffd
	v_cndmask_b32_e64 v20, 0, -1, vcc_lo
	s_delay_alu instid0(VALU_DEP_2)
	v_cmp_le_u32_e32 vcc_lo, s23, v11
	s_wait_alu 0xfffd
	v_cndmask_b32_e64 v21, 0, -1, vcc_lo
	v_cmp_le_u32_e32 vcc_lo, s22, v1
	s_wait_alu 0xfffd
	v_cndmask_b32_e64 v1, 0, -1, vcc_lo
	;; [unrolled: 3-line block ×3, first 2 shown]
	v_cmp_eq_u32_e32 vcc_lo, s23, v11
	s_wait_alu 0xfffd
	v_cndmask_b32_e32 v11, v21, v20, vcc_lo
	v_add_co_u32 v20, vcc_lo, v9, 1
	s_wait_alu 0xfffd
	v_add_co_ci_u32_e64 v21, null, 0, v10, vcc_lo
	v_cmp_eq_u32_e32 vcc_lo, s23, v2
	s_wait_alu 0xfffd
	v_cndmask_b32_e32 v1, v22, v1, vcc_lo
	v_cmp_ne_u32_e32 vcc_lo, 0, v11
	v_xor_b32_e32 v11, s16, v14
	s_wait_alu 0xfffd
	v_cndmask_b32_e32 v2, v21, v19, vcc_lo
	v_cmp_ne_u32_e64 s2, 0, v1
	v_cndmask_b32_e32 v1, v20, v12, vcc_lo
	s_wait_alu 0xf1ff
	s_delay_alu instid0(VALU_DEP_2) | instskip(NEXT) | instid1(VALU_DEP_2)
	v_cndmask_b32_e64 v2, v10, v2, s2
	v_cndmask_b32_e64 v1, v9, v1, s2
	s_delay_alu instid0(VALU_DEP_2) | instskip(NEXT) | instid1(VALU_DEP_2)
	v_xor_b32_e32 v2, v2, v11
	v_xor_b32_e32 v1, v1, v11
	s_delay_alu instid0(VALU_DEP_1) | instskip(SKIP_1) | instid1(VALU_DEP_3)
	v_sub_co_u32 v9, vcc_lo, v1, v11
	s_wait_alu 0xfffd
	v_sub_co_ci_u32_e64 v10, null, v2, v11, vcc_lo
.LBB63_14:                              ;   in Loop: Header=BB63_4 Depth=1
	s_and_not1_saveexec_b32 s2, s28
	s_cbranch_execz .LBB63_16
; %bb.15:                               ;   in Loop: Header=BB63_4 Depth=1
	v_cvt_f32_u32_e32 v2, s12
	s_sub_co_i32 s16, 0, s12
	s_delay_alu instid0(VALU_DEP_1) | instskip(NEXT) | instid1(TRANS32_DEP_1)
	v_rcp_iflag_f32_e32 v2, v2
	v_mul_f32_e32 v2, 0x4f7ffffe, v2
	s_delay_alu instid0(VALU_DEP_1) | instskip(SKIP_1) | instid1(VALU_DEP_1)
	v_cvt_u32_f32_e32 v2, v2
	s_wait_alu 0xfffe
	v_mul_lo_u32 v9, s16, v2
	s_delay_alu instid0(VALU_DEP_1) | instskip(NEXT) | instid1(VALU_DEP_1)
	v_mul_hi_u32 v9, v2, v9
	v_add_nc_u32_e32 v2, v2, v9
	s_delay_alu instid0(VALU_DEP_1) | instskip(NEXT) | instid1(VALU_DEP_1)
	v_mul_hi_u32 v2, v1, v2
	v_mul_lo_u32 v9, v2, s12
	s_delay_alu instid0(VALU_DEP_1) | instskip(SKIP_1) | instid1(VALU_DEP_2)
	v_sub_nc_u32_e32 v1, v1, v9
	v_add_nc_u32_e32 v9, 1, v2
	v_subrev_nc_u32_e32 v10, s12, v1
	v_cmp_le_u32_e32 vcc_lo, s12, v1
	s_wait_alu 0xfffd
	s_delay_alu instid0(VALU_DEP_2) | instskip(SKIP_2) | instid1(VALU_DEP_3)
	v_cndmask_b32_e32 v1, v1, v10, vcc_lo
	v_mov_b32_e32 v10, v13
	v_cndmask_b32_e32 v2, v2, v9, vcc_lo
	v_cmp_le_u32_e32 vcc_lo, s12, v1
	s_delay_alu instid0(VALU_DEP_2) | instskip(SKIP_1) | instid1(VALU_DEP_1)
	v_add_nc_u32_e32 v9, 1, v2
	s_wait_alu 0xfffd
	v_cndmask_b32_e32 v9, v2, v9, vcc_lo
.LBB63_16:                              ;   in Loop: Header=BB63_4 Depth=1
	s_wait_alu 0xfffe
	s_or_b32 exec_lo, exec_lo, s2
	v_or_b32_e32 v14, s13, v4
	s_mov_b32 s2, exec_lo
	s_delay_alu instid0(VALU_DEP_1)
	v_cmpx_ne_u64_e32 0, v[13:14]
	s_wait_alu 0xfffe
	s_xor_b32 s28, exec_lo, s2
	s_cbranch_execz .LBB63_18
; %bb.17:                               ;   in Loop: Header=BB63_4 Depth=1
	s_ashr_i32 s16, s13, 31
	v_ashrrev_i32_e32 v14, 31, v4
	s_wait_alu 0xfffe
	s_mov_b32 s17, s16
	s_wait_alu 0xfffe
	s_add_nc_u64 s[22:23], s[12:13], s[16:17]
	v_add_co_u32 v1, vcc_lo, v3, v14
	s_wait_alu 0xfffe
	s_xor_b64 s[22:23], s[22:23], s[16:17]
	s_wait_alu 0xfffd
	v_add_co_ci_u32_e64 v2, null, v4, v14, vcc_lo
	s_wait_alu 0xfffe
	s_cvt_f32_u32 s2, s22
	s_cvt_f32_u32 s13, s23
	s_sub_nc_u64 s[34:35], 0, s[22:23]
	v_xor_b32_e32 v19, v1, v14
	v_xor_b32_e32 v20, v2, v14
	s_wait_alu 0xfffe
	s_fmamk_f32 s2, s13, 0x4f800000, s2
	s_wait_alu 0xfffe
	s_delay_alu instid0(SALU_CYCLE_2) | instskip(NEXT) | instid1(TRANS32_DEP_1)
	v_s_rcp_f32 s2, s2
	s_mul_f32 s2, s2, 0x5f7ffffc
	s_wait_alu 0xfffe
	s_delay_alu instid0(SALU_CYCLE_2) | instskip(SKIP_1) | instid1(SALU_CYCLE_2)
	s_mul_f32 s13, s2, 0x2f800000
	s_wait_alu 0xfffe
	s_trunc_f32 s13, s13
	s_wait_alu 0xfffe
	s_delay_alu instid0(SALU_CYCLE_2) | instskip(SKIP_2) | instid1(SALU_CYCLE_1)
	s_fmamk_f32 s2, s13, 0xcf800000, s2
	s_cvt_u32_f32 s31, s13
	s_wait_alu 0xfffe
	s_cvt_u32_f32 s30, s2
	s_delay_alu instid0(SALU_CYCLE_3) | instskip(NEXT) | instid1(SALU_CYCLE_1)
	s_mul_u64 s[36:37], s[34:35], s[30:31]
	s_mul_hi_u32 s39, s30, s37
	s_mul_i32 s38, s30, s37
	s_mul_hi_u32 s2, s30, s36
	s_mul_i32 s17, s31, s36
	s_wait_alu 0xfffe
	s_add_nc_u64 s[38:39], s[2:3], s[38:39]
	s_mul_hi_u32 s13, s31, s36
	s_mul_hi_u32 s29, s31, s37
	s_add_co_u32 s2, s38, s17
	s_wait_alu 0xfffe
	s_add_co_ci_u32 s2, s39, s13
	s_mul_i32 s36, s31, s37
	s_add_co_ci_u32 s37, s29, 0
	s_wait_alu 0xfffe
	s_add_nc_u64 s[36:37], s[2:3], s[36:37]
	s_delay_alu instid0(SALU_CYCLE_1) | instskip(SKIP_4) | instid1(SALU_CYCLE_1)
	s_add_co_u32 s30, s30, s36
	s_cselect_b32 s2, -1, 0
	s_wait_alu 0xfffe
	s_cmp_lg_u32 s2, 0
	s_add_co_ci_u32 s31, s31, s37
	s_mul_u64 s[34:35], s[34:35], s[30:31]
	s_delay_alu instid0(SALU_CYCLE_1)
	s_mul_hi_u32 s37, s30, s35
	s_mul_i32 s36, s30, s35
	s_mul_hi_u32 s2, s30, s34
	s_mul_i32 s17, s31, s34
	s_wait_alu 0xfffe
	s_add_nc_u64 s[36:37], s[2:3], s[36:37]
	s_mul_hi_u32 s13, s31, s34
	s_mul_hi_u32 s29, s31, s35
	s_add_co_u32 s2, s36, s17
	s_wait_alu 0xfffe
	s_add_co_ci_u32 s2, s37, s13
	s_mul_i32 s34, s31, s35
	s_add_co_ci_u32 s35, s29, 0
	s_wait_alu 0xfffe
	s_add_nc_u64 s[34:35], s[2:3], s[34:35]
	s_delay_alu instid0(SALU_CYCLE_1)
	s_add_co_u32 s2, s30, s34
	s_cselect_b32 s13, -1, 0
	s_wait_alu 0xfffe
	v_mul_hi_u32 v21, v19, s2
	s_cmp_lg_u32 s13, 0
	v_mad_co_u64_u32 v[3:4], null, v20, s2, 0
	s_add_co_ci_u32 s13, s31, s35
	s_wait_alu 0xfffe
	v_mad_co_u64_u32 v[1:2], null, v19, s13, 0
	v_mad_co_u64_u32 v[11:12], null, v20, s13, 0
	s_delay_alu instid0(VALU_DEP_2) | instskip(SKIP_1) | instid1(VALU_DEP_3)
	v_add_co_u32 v1, vcc_lo, v21, v1
	s_wait_alu 0xfffd
	v_add_co_ci_u32_e64 v2, null, 0, v2, vcc_lo
	s_delay_alu instid0(VALU_DEP_2) | instskip(SKIP_1) | instid1(VALU_DEP_2)
	v_add_co_u32 v1, vcc_lo, v1, v3
	s_wait_alu 0xfffd
	v_add_co_ci_u32_e32 v1, vcc_lo, v2, v4, vcc_lo
	s_wait_alu 0xfffd
	v_add_co_ci_u32_e32 v2, vcc_lo, 0, v12, vcc_lo
	s_delay_alu instid0(VALU_DEP_2) | instskip(SKIP_1) | instid1(VALU_DEP_2)
	v_add_co_u32 v3, vcc_lo, v1, v11
	s_wait_alu 0xfffd
	v_add_co_ci_u32_e64 v4, null, 0, v2, vcc_lo
	s_delay_alu instid0(VALU_DEP_2) | instskip(SKIP_1) | instid1(VALU_DEP_3)
	v_mul_lo_u32 v11, s23, v3
	v_mad_co_u64_u32 v[1:2], null, s22, v3, 0
	v_mul_lo_u32 v12, s22, v4
	s_delay_alu instid0(VALU_DEP_2) | instskip(NEXT) | instid1(VALU_DEP_2)
	v_sub_co_u32 v1, vcc_lo, v19, v1
	v_add3_u32 v2, v2, v12, v11
	v_add_co_u32 v12, s2, v3, 2
	s_wait_alu 0xf1ff
	v_add_co_ci_u32_e64 v19, null, 0, v4, s2
	s_delay_alu instid0(VALU_DEP_3) | instskip(SKIP_3) | instid1(VALU_DEP_3)
	v_sub_nc_u32_e32 v11, v20, v2
	v_sub_co_u32 v21, s2, v1, s22
	s_wait_alu 0xfffd
	v_sub_co_ci_u32_e64 v2, null, v20, v2, vcc_lo
	v_subrev_co_ci_u32_e64 v11, null, s23, v11, vcc_lo
	s_delay_alu instid0(VALU_DEP_3) | instskip(SKIP_1) | instid1(VALU_DEP_2)
	v_cmp_le_u32_e32 vcc_lo, s22, v21
	s_wait_alu 0xf1ff
	v_subrev_co_ci_u32_e64 v11, null, 0, v11, s2
	s_wait_alu 0xfffd
	v_cndmask_b32_e64 v20, 0, -1, vcc_lo
	s_delay_alu instid0(VALU_DEP_2)
	v_cmp_le_u32_e32 vcc_lo, s23, v11
	s_wait_alu 0xfffd
	v_cndmask_b32_e64 v21, 0, -1, vcc_lo
	v_cmp_le_u32_e32 vcc_lo, s22, v1
	s_wait_alu 0xfffd
	v_cndmask_b32_e64 v1, 0, -1, vcc_lo
	;; [unrolled: 3-line block ×3, first 2 shown]
	v_cmp_eq_u32_e32 vcc_lo, s23, v11
	s_wait_alu 0xfffd
	v_cndmask_b32_e32 v11, v21, v20, vcc_lo
	v_add_co_u32 v20, vcc_lo, v3, 1
	s_wait_alu 0xfffd
	v_add_co_ci_u32_e64 v21, null, 0, v4, vcc_lo
	v_cmp_eq_u32_e32 vcc_lo, s23, v2
	s_wait_alu 0xfffd
	v_cndmask_b32_e32 v1, v22, v1, vcc_lo
	v_cmp_ne_u32_e32 vcc_lo, 0, v11
	s_wait_alu 0xfffd
	v_cndmask_b32_e32 v2, v21, v19, vcc_lo
	s_delay_alu instid0(VALU_DEP_3) | instskip(SKIP_3) | instid1(VALU_DEP_3)
	v_cmp_ne_u32_e64 s2, 0, v1
	v_cndmask_b32_e32 v1, v20, v12, vcc_lo
	v_xor_b32_e32 v12, s16, v14
	s_wait_alu 0xf1ff
	v_cndmask_b32_e64 v2, v4, v2, s2
	s_delay_alu instid0(VALU_DEP_3) | instskip(NEXT) | instid1(VALU_DEP_2)
	v_cndmask_b32_e64 v1, v3, v1, s2
                                        ; implicit-def: $vgpr3_vgpr4
	v_xor_b32_e32 v2, v2, v12
	s_delay_alu instid0(VALU_DEP_2) | instskip(NEXT) | instid1(VALU_DEP_1)
	v_xor_b32_e32 v1, v1, v12
	v_sub_co_u32 v11, vcc_lo, v1, v12
	s_wait_alu 0xfffd
	s_delay_alu instid0(VALU_DEP_3)
	v_sub_co_ci_u32_e64 v12, null, v2, v12, vcc_lo
.LBB63_18:                              ;   in Loop: Header=BB63_4 Depth=1
	s_and_not1_saveexec_b32 s2, s28
	s_cbranch_execz .LBB63_3
; %bb.19:                               ;   in Loop: Header=BB63_4 Depth=1
	v_cvt_f32_u32_e32 v1, s12
	s_sub_co_i32 s13, 0, s12
	v_mov_b32_e32 v12, v13
	s_delay_alu instid0(VALU_DEP_2) | instskip(NEXT) | instid1(TRANS32_DEP_1)
	v_rcp_iflag_f32_e32 v1, v1
	v_mul_f32_e32 v1, 0x4f7ffffe, v1
	s_delay_alu instid0(VALU_DEP_1) | instskip(SKIP_1) | instid1(VALU_DEP_1)
	v_cvt_u32_f32_e32 v1, v1
	s_wait_alu 0xfffe
	v_mul_lo_u32 v2, s13, v1
	s_delay_alu instid0(VALU_DEP_1) | instskip(NEXT) | instid1(VALU_DEP_1)
	v_mul_hi_u32 v2, v1, v2
	v_add_nc_u32_e32 v1, v1, v2
	s_delay_alu instid0(VALU_DEP_1) | instskip(NEXT) | instid1(VALU_DEP_1)
	v_mul_hi_u32 v1, v3, v1
	v_mul_lo_u32 v2, v1, s12
	s_delay_alu instid0(VALU_DEP_1) | instskip(SKIP_1) | instid1(VALU_DEP_2)
	v_sub_nc_u32_e32 v2, v3, v2
	v_add_nc_u32_e32 v3, 1, v1
	v_subrev_nc_u32_e32 v4, s12, v2
	v_cmp_le_u32_e32 vcc_lo, s12, v2
	s_wait_alu 0xfffd
	s_delay_alu instid0(VALU_DEP_2) | instskip(NEXT) | instid1(VALU_DEP_1)
	v_dual_cndmask_b32 v2, v2, v4 :: v_dual_cndmask_b32 v1, v1, v3
	v_cmp_le_u32_e32 vcc_lo, s12, v2
	s_delay_alu instid0(VALU_DEP_2) | instskip(SKIP_1) | instid1(VALU_DEP_1)
	v_add_nc_u32_e32 v3, 1, v1
	s_wait_alu 0xfffd
	v_cndmask_b32_e32 v11, v1, v3, vcc_lo
	s_branch .LBB63_3
.LBB63_20:
	s_or_b32 exec_lo, exec_lo, s24
	s_mov_b32 s2, 0
.LBB63_21:
	s_wait_alu 0xfffe
	s_and_not1_b32 vcc_lo, exec_lo, s2
	s_wait_alu 0xfffe
	s_cbranch_vccnz .LBB63_57
; %bb.22:
	v_cmp_lt_i64_e64 s2, s[14:15], 1
	s_and_b32 vcc_lo, exec_lo, s2
	s_wait_alu 0xfffe
	s_cbranch_vccnz .LBB63_57
; %bb.23:
	s_load_b32 s0, s[0:1], 0xc6c
	v_cmp_gt_i64_e64 s1, 0x10000, s[14:15]
	v_cmp_gt_u64_e64 s2, 0x10000, s[14:15]
	v_dual_mov_b32 v1, 0 :: v_dual_lshlrev_b32 v2, 3, v0
	s_mov_b32 s5, 0
	s_and_b32 s1, s1, exec_lo
	s_cselect_b32 s13, s15, 0
	s_cselect_b32 s12, s14, 0x10000
	v_add_co_u32 v13, s3, s18, v2
	s_wait_alu 0xf1ff
	v_add_co_ci_u32_e64 v14, null, s19, 0, s3
	v_add_co_u32 v15, s3, s20, v2
	s_wait_alu 0xf1ff
	v_add_co_ci_u32_e64 v16, null, s21, 0, s3
	s_wait_alu 0xfffe
	s_mov_b32 s17, s5
	s_wait_kmcnt 0x0
	s_and_b32 s0, s0, 0xffff
	s_and_b32 s1, s2, exec_lo
	s_mul_i32 s2, s0, 3
	s_cselect_b32 s15, s15, 0
	s_wait_alu 0xfffe
	v_add_co_u32 v21, s2, s2, v0
	s_wait_alu 0xf1ff
	v_add_co_ci_u32_e64 v22, null, 0, 0, s2
	v_add_co_u32 v25, s2, v0, s0
	v_mov_b32_e32 v3, v1
	s_cselect_b32 s14, s14, 0x10000
	s_lshl_b32 s3, s0, 4
	s_lshl_b32 s1, s0, 1
	v_add_co_ci_u32_e64 v28, null, 0, 0, s2
	v_mad_co_u64_u32 v[3:4], null, s0, 24, v[2:3]
	s_wait_alu 0xfffe
	v_add_co_u32 v2, s3, s3, v2
	v_add_co_u32 v29, s1, s1, v0
	s_wait_alu 0xf1ff
	v_add_co_ci_u32_e64 v30, null, 0, 0, s1
	s_delay_alu instid0(VALU_DEP_4)
	v_add_co_u32 v17, vcc_lo, s18, v3
	s_wait_alu 0xfffd
	v_add_co_ci_u32_e64 v18, null, s19, v4, vcc_lo
	v_add_co_u32 v19, vcc_lo, s20, v3
	v_add_co_ci_u32_e64 v3, null, 0, 0, s3
	s_wait_alu 0xfffd
	v_add_co_ci_u32_e64 v20, null, s21, v4, vcc_lo
	v_add_co_u32 v23, vcc_lo, s18, v2
	s_wait_alu 0xfffd
	v_add_co_ci_u32_e64 v24, null, s19, v3, vcc_lo
	v_add_co_u32 v26, vcc_lo, s20, v2
	v_lshlrev_b32_e32 v2, 3, v25
	s_wait_alu 0xfffd
	v_add_co_ci_u32_e64 v27, null, s21, v3, vcc_lo
	s_lshl_b32 s16, s0, 2
	s_lshl_b32 s26, s0, 5
	v_add_co_u32 v31, s1, s18, v2
	s_wait_alu 0xf1ff
	v_add_co_ci_u32_e64 v32, null, s19, 0, s1
	v_add_co_u32 v33, s1, s20, v2
	s_wait_alu 0xf1ff
	v_add_co_ci_u32_e64 v34, null, s21, 0, s1
	s_mov_b64 s[18:19], 0
	s_branch .LBB63_25
.LBB63_24:                              ;   in Loop: Header=BB63_25 Depth=1
	s_wait_alu 0xfffe
	s_or_b32 exec_lo, exec_lo, s0
	v_add_co_u32 v13, vcc_lo, v13, s26
	s_wait_alu 0xfffd
	v_add_co_ci_u32_e64 v14, null, 0, v14, vcc_lo
	v_add_co_u32 v15, vcc_lo, v15, s26
	s_wait_alu 0xfffd
	v_add_co_ci_u32_e64 v16, null, 0, v16, vcc_lo
	;; [unrolled: 3-line block ×5, first 2 shown]
	v_add_co_u32 v26, vcc_lo, v26, s26
	s_add_nc_u64 s[18:19], s[18:19], s[16:17]
	s_wait_alu 0xfffd
	v_add_co_ci_u32_e64 v27, null, 0, v27, vcc_lo
	v_add_co_u32 v31, vcc_lo, v31, s26
	s_wait_alu 0xfffe
	v_cmp_ge_i64_e64 s0, s[18:19], s[12:13]
	s_wait_alu 0xfffd
	v_add_co_ci_u32_e64 v32, null, 0, v32, vcc_lo
	v_add_co_u32 v33, vcc_lo, v33, s26
	s_wait_alu 0xfffd
	v_add_co_ci_u32_e64 v34, null, 0, v34, vcc_lo
	s_and_b32 vcc_lo, exec_lo, s0
	s_wait_alu 0xfffe
	s_cbranch_vccnz .LBB63_57
.LBB63_25:                              ; =>This Inner Loop Header: Depth=1
	s_wait_alu 0xfffe
	v_add_co_u32 v2, s0, v0, s18
	s_wait_alu 0xf1ff
	v_add_co_ci_u32_e64 v3, null, 0, s19, s0
	v_mov_b32_e32 v9, 0
	v_mov_b32_e32 v10, 0
	s_delay_alu instid0(VALU_DEP_3)
	v_cmp_gt_u64_e64 s3, s[14:15], v[2:3]
	v_mov_b32_e32 v3, 0
	v_mov_b32_e32 v4, 0
	s_and_saveexec_b32 s0, s3
	s_cbranch_execz .LBB63_27
; %bb.26:                               ;   in Loop: Header=BB63_25 Depth=1
	v_add_co_u32 v2, vcc_lo, v13, s6
	s_wait_alu 0xfffd
	v_add_co_ci_u32_e64 v3, null, s7, v14, vcc_lo
	global_load_b64 v[3:4], v[2:3], off
.LBB63_27:                              ;   in Loop: Header=BB63_25 Depth=1
	s_wait_alu 0xfffe
	s_or_b32 exec_lo, exec_lo, s0
	v_add_co_u32 v5, vcc_lo, v25, s18
	s_wait_alu 0xfffd
	v_add_co_ci_u32_e64 v6, null, s19, v28, vcc_lo
	s_delay_alu instid0(VALU_DEP_1)
	v_cmp_gt_u64_e64 s0, s[14:15], v[5:6]
	s_and_saveexec_b32 s1, s0
	s_cbranch_execz .LBB63_29
; %bb.28:                               ;   in Loop: Header=BB63_25 Depth=1
	v_add_co_u32 v5, vcc_lo, v31, s6
	s_wait_alu 0xfffd
	v_add_co_ci_u32_e64 v6, null, s7, v32, vcc_lo
	global_load_b64 v[9:10], v[5:6], off
.LBB63_29:                              ;   in Loop: Header=BB63_25 Depth=1
	s_wait_alu 0xfffe
	s_or_b32 exec_lo, exec_lo, s1
	v_add_co_u32 v5, vcc_lo, v29, s18
	s_wait_alu 0xfffd
	v_add_co_ci_u32_e64 v6, null, s19, v30, vcc_lo
	v_mov_b32_e32 v7, 0
	v_dual_mov_b32 v8, 0 :: v_dual_mov_b32 v11, 0
	s_delay_alu instid0(VALU_DEP_3)
	v_cmp_gt_u64_e64 s1, s[14:15], v[5:6]
	v_mov_b32_e32 v12, 0
	s_and_saveexec_b32 s2, s1
	s_cbranch_execz .LBB63_31
; %bb.30:                               ;   in Loop: Header=BB63_25 Depth=1
	v_add_co_u32 v5, vcc_lo, v23, s6
	s_wait_alu 0xfffd
	v_add_co_ci_u32_e64 v6, null, s7, v24, vcc_lo
	global_load_b64 v[11:12], v[5:6], off
.LBB63_31:                              ;   in Loop: Header=BB63_25 Depth=1
	s_wait_alu 0xfffe
	s_or_b32 exec_lo, exec_lo, s2
	v_add_co_u32 v5, vcc_lo, v21, s18
	s_wait_alu 0xfffd
	v_add_co_ci_u32_e64 v6, null, s19, v22, vcc_lo
	s_delay_alu instid0(VALU_DEP_1)
	v_cmp_gt_u64_e64 s2, s[14:15], v[5:6]
	s_and_saveexec_b32 s4, s2
	s_cbranch_execz .LBB63_33
; %bb.32:                               ;   in Loop: Header=BB63_25 Depth=1
	v_add_co_u32 v5, vcc_lo, v17, s6
	s_wait_alu 0xfffd
	v_add_co_ci_u32_e64 v6, null, s7, v18, vcc_lo
	global_load_b64 v[7:8], v[5:6], off
.LBB63_33:                              ;   in Loop: Header=BB63_25 Depth=1
	s_wait_alu 0xfffe
	s_or_b32 exec_lo, exec_lo, s4
	global_load_b64 v[5:6], v1, s[8:9]
	s_mov_b32 s4, exec_lo
	s_wait_loadcnt 0x0
	v_readfirstlane_b32 s20, v5
	v_readfirstlane_b32 s21, v6
                                        ; implicit-def: $vgpr5_vgpr6
	s_mul_u64 s[20:21], s[20:21], s[10:11]
	s_wait_alu 0xfffe
	v_or_b32_e32 v2, s21, v10
	s_delay_alu instid0(VALU_DEP_1)
	v_cmpx_ne_u64_e32 0, v[1:2]
	s_xor_b32 s27, exec_lo, s4
	s_cbranch_execz .LBB63_35
; %bb.34:                               ;   in Loop: Header=BB63_25 Depth=1
	s_ashr_i32 s22, s21, 31
	v_ashrrev_i32_e32 v2, 31, v10
	s_wait_alu 0xfffe
	s_mov_b32 s23, s22
	s_wait_alu 0xfffe
	s_add_nc_u64 s[24:25], s[20:21], s[22:23]
	v_add_co_u32 v5, vcc_lo, v9, v2
	s_wait_alu 0xfffe
	s_xor_b64 s[24:25], s[24:25], s[22:23]
	s_wait_alu 0xfffd
	v_add_co_ci_u32_e64 v6, null, v10, v2, vcc_lo
	s_wait_alu 0xfffe
	s_cvt_f32_u32 s4, s24
	s_cvt_f32_u32 s23, s25
	s_sub_nc_u64 s[30:31], 0, s[24:25]
	v_xor_b32_e32 v37, v5, v2
	v_xor_b32_e32 v38, v6, v2
	s_wait_alu 0xfffe
	s_fmamk_f32 s4, s23, 0x4f800000, s4
	v_xor_b32_e32 v2, s22, v2
	s_wait_alu 0xfffe
	s_delay_alu instid0(SALU_CYCLE_1) | instskip(NEXT) | instid1(TRANS32_DEP_1)
	v_s_rcp_f32 s4, s4
	s_mul_f32 s4, s4, 0x5f7ffffc
	s_wait_alu 0xfffe
	s_delay_alu instid0(SALU_CYCLE_2) | instskip(SKIP_1) | instid1(SALU_CYCLE_2)
	s_mul_f32 s23, s4, 0x2f800000
	s_wait_alu 0xfffe
	s_trunc_f32 s23, s23
	s_wait_alu 0xfffe
	s_delay_alu instid0(SALU_CYCLE_2) | instskip(SKIP_2) | instid1(SALU_CYCLE_1)
	s_fmamk_f32 s4, s23, 0xcf800000, s4
	s_cvt_u32_f32 s29, s23
	s_wait_alu 0xfffe
	s_cvt_u32_f32 s28, s4
	s_delay_alu instid0(SALU_CYCLE_3) | instskip(NEXT) | instid1(SALU_CYCLE_1)
	s_mul_u64 s[34:35], s[30:31], s[28:29]
	s_mul_hi_u32 s37, s28, s35
	s_mul_i32 s36, s28, s35
	s_mul_hi_u32 s4, s28, s34
	s_mul_i32 s33, s29, s34
	s_wait_alu 0xfffe
	s_add_nc_u64 s[36:37], s[4:5], s[36:37]
	s_mul_hi_u32 s23, s29, s34
	s_mul_hi_u32 s38, s29, s35
	s_add_co_u32 s4, s36, s33
	s_wait_alu 0xfffe
	s_add_co_ci_u32 s4, s37, s23
	s_mul_i32 s34, s29, s35
	s_add_co_ci_u32 s35, s38, 0
	s_wait_alu 0xfffe
	s_add_nc_u64 s[34:35], s[4:5], s[34:35]
	s_delay_alu instid0(SALU_CYCLE_1) | instskip(SKIP_4) | instid1(SALU_CYCLE_1)
	s_add_co_u32 s28, s28, s34
	s_cselect_b32 s4, -1, 0
	s_wait_alu 0xfffe
	s_cmp_lg_u32 s4, 0
	s_add_co_ci_u32 s29, s29, s35
	s_mul_u64 s[30:31], s[30:31], s[28:29]
	s_delay_alu instid0(SALU_CYCLE_1)
	s_mul_hi_u32 s35, s28, s31
	s_mul_i32 s34, s28, s31
	s_mul_hi_u32 s4, s28, s30
	s_mul_i32 s33, s29, s30
	s_wait_alu 0xfffe
	s_add_nc_u64 s[34:35], s[4:5], s[34:35]
	s_mul_hi_u32 s23, s29, s30
	s_mul_hi_u32 s36, s29, s31
	s_add_co_u32 s4, s34, s33
	s_wait_alu 0xfffe
	s_add_co_ci_u32 s4, s35, s23
	s_mul_i32 s30, s29, s31
	s_add_co_ci_u32 s31, s36, 0
	s_wait_alu 0xfffe
	s_add_nc_u64 s[30:31], s[4:5], s[30:31]
	s_delay_alu instid0(SALU_CYCLE_1)
	s_add_co_u32 s4, s28, s30
	s_cselect_b32 s23, -1, 0
	s_wait_alu 0xfffe
	v_mul_hi_u32 v39, v37, s4
	s_cmp_lg_u32 s23, 0
	v_mad_co_u64_u32 v[9:10], null, v38, s4, 0
	s_add_co_ci_u32 s23, s29, s31
	s_wait_alu 0xfffe
	v_mad_co_u64_u32 v[5:6], null, v37, s23, 0
	v_mad_co_u64_u32 v[35:36], null, v38, s23, 0
	s_delay_alu instid0(VALU_DEP_2) | instskip(SKIP_1) | instid1(VALU_DEP_3)
	v_add_co_u32 v5, vcc_lo, v39, v5
	s_wait_alu 0xfffd
	v_add_co_ci_u32_e64 v6, null, 0, v6, vcc_lo
	s_delay_alu instid0(VALU_DEP_2) | instskip(SKIP_1) | instid1(VALU_DEP_2)
	v_add_co_u32 v5, vcc_lo, v5, v9
	s_wait_alu 0xfffd
	v_add_co_ci_u32_e32 v5, vcc_lo, v6, v10, vcc_lo
	s_wait_alu 0xfffd
	v_add_co_ci_u32_e32 v6, vcc_lo, 0, v36, vcc_lo
	s_delay_alu instid0(VALU_DEP_2) | instskip(SKIP_1) | instid1(VALU_DEP_2)
	v_add_co_u32 v9, vcc_lo, v5, v35
	s_wait_alu 0xfffd
	v_add_co_ci_u32_e64 v10, null, 0, v6, vcc_lo
	s_delay_alu instid0(VALU_DEP_2) | instskip(SKIP_1) | instid1(VALU_DEP_3)
	v_mul_lo_u32 v35, s25, v9
	v_mad_co_u64_u32 v[5:6], null, s24, v9, 0
	v_mul_lo_u32 v36, s24, v10
	s_delay_alu instid0(VALU_DEP_2) | instskip(NEXT) | instid1(VALU_DEP_2)
	v_sub_co_u32 v5, vcc_lo, v37, v5
	v_add3_u32 v6, v6, v36, v35
	v_add_co_u32 v36, s4, v9, 2
	s_wait_alu 0xf1ff
	v_add_co_ci_u32_e64 v37, null, 0, v10, s4
	s_delay_alu instid0(VALU_DEP_3) | instskip(SKIP_3) | instid1(VALU_DEP_3)
	v_sub_nc_u32_e32 v35, v38, v6
	v_sub_co_u32 v39, s4, v5, s24
	s_wait_alu 0xfffd
	v_sub_co_ci_u32_e64 v6, null, v38, v6, vcc_lo
	v_subrev_co_ci_u32_e64 v35, null, s25, v35, vcc_lo
	s_delay_alu instid0(VALU_DEP_3) | instskip(SKIP_1) | instid1(VALU_DEP_2)
	v_cmp_le_u32_e32 vcc_lo, s24, v39
	s_wait_alu 0xf1ff
	v_subrev_co_ci_u32_e64 v35, null, 0, v35, s4
	s_wait_alu 0xfffd
	v_cndmask_b32_e64 v38, 0, -1, vcc_lo
	s_delay_alu instid0(VALU_DEP_2)
	v_cmp_le_u32_e32 vcc_lo, s25, v35
	s_wait_alu 0xfffd
	v_cndmask_b32_e64 v39, 0, -1, vcc_lo
	v_cmp_le_u32_e32 vcc_lo, s24, v5
	s_wait_alu 0xfffd
	v_cndmask_b32_e64 v5, 0, -1, vcc_lo
	;; [unrolled: 3-line block ×3, first 2 shown]
	v_cmp_eq_u32_e32 vcc_lo, s25, v35
	s_wait_alu 0xfffd
	v_cndmask_b32_e32 v35, v39, v38, vcc_lo
	v_add_co_u32 v38, vcc_lo, v9, 1
	s_wait_alu 0xfffd
	v_add_co_ci_u32_e64 v39, null, 0, v10, vcc_lo
	v_cmp_eq_u32_e32 vcc_lo, s25, v6
	s_wait_alu 0xfffd
	v_cndmask_b32_e32 v5, v40, v5, vcc_lo
	v_cmp_ne_u32_e32 vcc_lo, 0, v35
	s_delay_alu instid0(VALU_DEP_2) | instskip(SKIP_3) | instid1(VALU_DEP_1)
	v_cmp_ne_u32_e64 s4, 0, v5
	s_wait_alu 0xfffd
	v_dual_cndmask_b32 v6, v39, v37 :: v_dual_cndmask_b32 v5, v38, v36
	s_wait_alu 0xf1ff
	v_cndmask_b32_e64 v6, v10, v6, s4
	s_delay_alu instid0(VALU_DEP_2) | instskip(NEXT) | instid1(VALU_DEP_2)
	v_cndmask_b32_e64 v5, v9, v5, s4
                                        ; implicit-def: $vgpr9_vgpr10
	v_xor_b32_e32 v6, v6, v2
	s_delay_alu instid0(VALU_DEP_2) | instskip(NEXT) | instid1(VALU_DEP_1)
	v_xor_b32_e32 v5, v5, v2
	v_sub_co_u32 v5, vcc_lo, v5, v2
	s_wait_alu 0xfffd
	s_delay_alu instid0(VALU_DEP_3)
	v_sub_co_ci_u32_e64 v6, null, v6, v2, vcc_lo
.LBB63_35:                              ;   in Loop: Header=BB63_25 Depth=1
	s_wait_alu 0xfffe
	s_and_not1_saveexec_b32 s4, s27
	s_cbranch_execz .LBB63_37
; %bb.36:                               ;   in Loop: Header=BB63_25 Depth=1
	v_cvt_f32_u32_e32 v2, s20
	s_sub_co_i32 s22, 0, s20
	s_delay_alu instid0(VALU_DEP_1) | instskip(NEXT) | instid1(TRANS32_DEP_1)
	v_rcp_iflag_f32_e32 v2, v2
	v_mul_f32_e32 v2, 0x4f7ffffe, v2
	s_delay_alu instid0(VALU_DEP_1) | instskip(SKIP_1) | instid1(VALU_DEP_1)
	v_cvt_u32_f32_e32 v2, v2
	s_wait_alu 0xfffe
	v_mul_lo_u32 v5, s22, v2
	s_delay_alu instid0(VALU_DEP_1) | instskip(NEXT) | instid1(VALU_DEP_1)
	v_mul_hi_u32 v5, v2, v5
	v_add_nc_u32_e32 v2, v2, v5
	s_delay_alu instid0(VALU_DEP_1) | instskip(NEXT) | instid1(VALU_DEP_1)
	v_mul_hi_u32 v2, v9, v2
	v_mul_lo_u32 v5, v2, s20
	v_add_nc_u32_e32 v6, 1, v2
	s_delay_alu instid0(VALU_DEP_2) | instskip(NEXT) | instid1(VALU_DEP_1)
	v_sub_nc_u32_e32 v5, v9, v5
	v_subrev_nc_u32_e32 v9, s20, v5
	v_cmp_le_u32_e32 vcc_lo, s20, v5
	s_wait_alu 0xfffd
	s_delay_alu instid0(VALU_DEP_2) | instskip(NEXT) | instid1(VALU_DEP_1)
	v_dual_cndmask_b32 v5, v5, v9 :: v_dual_cndmask_b32 v2, v2, v6
	v_cmp_le_u32_e32 vcc_lo, s20, v5
	s_delay_alu instid0(VALU_DEP_2) | instskip(SKIP_1) | instid1(VALU_DEP_1)
	v_add_nc_u32_e32 v6, 1, v2
	s_wait_alu 0xfffd
	v_dual_cndmask_b32 v5, v2, v6 :: v_dual_mov_b32 v6, v1
.LBB63_37:                              ;   in Loop: Header=BB63_25 Depth=1
	s_wait_alu 0xfffe
	s_or_b32 exec_lo, exec_lo, s4
	v_or_b32_e32 v2, s21, v12
                                        ; implicit-def: $vgpr9_vgpr10
	s_mov_b32 s4, exec_lo
	s_delay_alu instid0(VALU_DEP_1)
	v_cmpx_ne_u64_e32 0, v[1:2]
	s_wait_alu 0xfffe
	s_xor_b32 s27, exec_lo, s4
	s_cbranch_execz .LBB63_39
; %bb.38:                               ;   in Loop: Header=BB63_25 Depth=1
	s_ashr_i32 s22, s21, 31
	v_ashrrev_i32_e32 v2, 31, v12
	s_wait_alu 0xfffe
	s_mov_b32 s23, s22
	s_wait_alu 0xfffe
	s_add_nc_u64 s[24:25], s[20:21], s[22:23]
	v_add_co_u32 v9, vcc_lo, v11, v2
	s_wait_alu 0xfffe
	s_xor_b64 s[24:25], s[24:25], s[22:23]
	s_wait_alu 0xfffd
	v_add_co_ci_u32_e64 v10, null, v12, v2, vcc_lo
	s_wait_alu 0xfffe
	s_cvt_f32_u32 s4, s24
	s_cvt_f32_u32 s23, s25
	s_sub_nc_u64 s[30:31], 0, s[24:25]
	v_xor_b32_e32 v37, v9, v2
	v_xor_b32_e32 v38, v10, v2
	s_wait_alu 0xfffe
	s_fmamk_f32 s4, s23, 0x4f800000, s4
	v_xor_b32_e32 v2, s22, v2
	s_wait_alu 0xfffe
	s_delay_alu instid0(SALU_CYCLE_1) | instskip(NEXT) | instid1(TRANS32_DEP_1)
	v_s_rcp_f32 s4, s4
	s_mul_f32 s4, s4, 0x5f7ffffc
	s_wait_alu 0xfffe
	s_delay_alu instid0(SALU_CYCLE_2) | instskip(SKIP_1) | instid1(SALU_CYCLE_2)
	s_mul_f32 s23, s4, 0x2f800000
	s_wait_alu 0xfffe
	s_trunc_f32 s23, s23
	s_wait_alu 0xfffe
	s_delay_alu instid0(SALU_CYCLE_2) | instskip(SKIP_2) | instid1(SALU_CYCLE_1)
	s_fmamk_f32 s4, s23, 0xcf800000, s4
	s_cvt_u32_f32 s29, s23
	s_wait_alu 0xfffe
	s_cvt_u32_f32 s28, s4
	s_delay_alu instid0(SALU_CYCLE_3) | instskip(NEXT) | instid1(SALU_CYCLE_1)
	s_mul_u64 s[34:35], s[30:31], s[28:29]
	s_mul_hi_u32 s37, s28, s35
	s_mul_i32 s36, s28, s35
	s_mul_hi_u32 s4, s28, s34
	s_mul_i32 s33, s29, s34
	s_wait_alu 0xfffe
	s_add_nc_u64 s[36:37], s[4:5], s[36:37]
	s_mul_hi_u32 s23, s29, s34
	s_mul_hi_u32 s38, s29, s35
	s_add_co_u32 s4, s36, s33
	s_wait_alu 0xfffe
	s_add_co_ci_u32 s4, s37, s23
	s_mul_i32 s34, s29, s35
	s_add_co_ci_u32 s35, s38, 0
	s_wait_alu 0xfffe
	s_add_nc_u64 s[34:35], s[4:5], s[34:35]
	s_delay_alu instid0(SALU_CYCLE_1) | instskip(SKIP_4) | instid1(SALU_CYCLE_1)
	s_add_co_u32 s28, s28, s34
	s_cselect_b32 s4, -1, 0
	s_wait_alu 0xfffe
	s_cmp_lg_u32 s4, 0
	s_add_co_ci_u32 s29, s29, s35
	s_mul_u64 s[30:31], s[30:31], s[28:29]
	s_delay_alu instid0(SALU_CYCLE_1)
	s_mul_hi_u32 s35, s28, s31
	s_mul_i32 s34, s28, s31
	s_mul_hi_u32 s4, s28, s30
	s_mul_i32 s33, s29, s30
	s_wait_alu 0xfffe
	s_add_nc_u64 s[34:35], s[4:5], s[34:35]
	s_mul_hi_u32 s23, s29, s30
	s_mul_hi_u32 s36, s29, s31
	s_add_co_u32 s4, s34, s33
	s_wait_alu 0xfffe
	s_add_co_ci_u32 s4, s35, s23
	s_mul_i32 s30, s29, s31
	s_add_co_ci_u32 s31, s36, 0
	s_wait_alu 0xfffe
	s_add_nc_u64 s[30:31], s[4:5], s[30:31]
	s_delay_alu instid0(SALU_CYCLE_1)
	s_add_co_u32 s4, s28, s30
	s_cselect_b32 s23, -1, 0
	s_wait_alu 0xfffe
	v_mul_hi_u32 v39, v37, s4
	s_cmp_lg_u32 s23, 0
	v_mad_co_u64_u32 v[11:12], null, v38, s4, 0
	s_add_co_ci_u32 s23, s29, s31
	s_wait_alu 0xfffe
	v_mad_co_u64_u32 v[9:10], null, v37, s23, 0
	v_mad_co_u64_u32 v[35:36], null, v38, s23, 0
	s_delay_alu instid0(VALU_DEP_2) | instskip(SKIP_1) | instid1(VALU_DEP_3)
	v_add_co_u32 v9, vcc_lo, v39, v9
	s_wait_alu 0xfffd
	v_add_co_ci_u32_e64 v10, null, 0, v10, vcc_lo
	s_delay_alu instid0(VALU_DEP_2) | instskip(SKIP_1) | instid1(VALU_DEP_2)
	v_add_co_u32 v9, vcc_lo, v9, v11
	s_wait_alu 0xfffd
	v_add_co_ci_u32_e32 v9, vcc_lo, v10, v12, vcc_lo
	s_wait_alu 0xfffd
	v_add_co_ci_u32_e32 v10, vcc_lo, 0, v36, vcc_lo
	s_delay_alu instid0(VALU_DEP_2) | instskip(SKIP_1) | instid1(VALU_DEP_2)
	v_add_co_u32 v11, vcc_lo, v9, v35
	s_wait_alu 0xfffd
	v_add_co_ci_u32_e64 v12, null, 0, v10, vcc_lo
	s_delay_alu instid0(VALU_DEP_2) | instskip(SKIP_1) | instid1(VALU_DEP_3)
	v_mul_lo_u32 v35, s25, v11
	v_mad_co_u64_u32 v[9:10], null, s24, v11, 0
	v_mul_lo_u32 v36, s24, v12
	s_delay_alu instid0(VALU_DEP_2) | instskip(NEXT) | instid1(VALU_DEP_2)
	v_sub_co_u32 v9, vcc_lo, v37, v9
	v_add3_u32 v10, v10, v36, v35
	v_add_co_u32 v36, s4, v11, 2
	s_wait_alu 0xf1ff
	v_add_co_ci_u32_e64 v37, null, 0, v12, s4
	s_delay_alu instid0(VALU_DEP_3) | instskip(SKIP_3) | instid1(VALU_DEP_3)
	v_sub_nc_u32_e32 v35, v38, v10
	v_sub_co_u32 v39, s4, v9, s24
	s_wait_alu 0xfffd
	v_sub_co_ci_u32_e64 v10, null, v38, v10, vcc_lo
	v_subrev_co_ci_u32_e64 v35, null, s25, v35, vcc_lo
	s_delay_alu instid0(VALU_DEP_3) | instskip(SKIP_1) | instid1(VALU_DEP_2)
	v_cmp_le_u32_e32 vcc_lo, s24, v39
	s_wait_alu 0xf1ff
	v_subrev_co_ci_u32_e64 v35, null, 0, v35, s4
	s_wait_alu 0xfffd
	v_cndmask_b32_e64 v38, 0, -1, vcc_lo
	s_delay_alu instid0(VALU_DEP_2)
	v_cmp_le_u32_e32 vcc_lo, s25, v35
	s_wait_alu 0xfffd
	v_cndmask_b32_e64 v39, 0, -1, vcc_lo
	v_cmp_le_u32_e32 vcc_lo, s24, v9
	s_wait_alu 0xfffd
	v_cndmask_b32_e64 v9, 0, -1, vcc_lo
	;; [unrolled: 3-line block ×3, first 2 shown]
	v_cmp_eq_u32_e32 vcc_lo, s25, v35
	s_wait_alu 0xfffd
	v_cndmask_b32_e32 v35, v39, v38, vcc_lo
	v_add_co_u32 v38, vcc_lo, v11, 1
	s_wait_alu 0xfffd
	v_add_co_ci_u32_e64 v39, null, 0, v12, vcc_lo
	v_cmp_eq_u32_e32 vcc_lo, s25, v10
	s_wait_alu 0xfffd
	v_cndmask_b32_e32 v9, v40, v9, vcc_lo
	v_cmp_ne_u32_e32 vcc_lo, 0, v35
	s_delay_alu instid0(VALU_DEP_2) | instskip(SKIP_3) | instid1(VALU_DEP_1)
	v_cmp_ne_u32_e64 s4, 0, v9
	s_wait_alu 0xfffd
	v_dual_cndmask_b32 v10, v39, v37 :: v_dual_cndmask_b32 v9, v38, v36
	s_wait_alu 0xf1ff
	v_cndmask_b32_e64 v10, v12, v10, s4
	s_delay_alu instid0(VALU_DEP_2) | instskip(NEXT) | instid1(VALU_DEP_2)
	v_cndmask_b32_e64 v9, v11, v9, s4
                                        ; implicit-def: $vgpr11_vgpr12
	v_xor_b32_e32 v10, v10, v2
	s_delay_alu instid0(VALU_DEP_2) | instskip(NEXT) | instid1(VALU_DEP_1)
	v_xor_b32_e32 v9, v9, v2
	v_sub_co_u32 v9, vcc_lo, v9, v2
	s_wait_alu 0xfffd
	s_delay_alu instid0(VALU_DEP_3)
	v_sub_co_ci_u32_e64 v10, null, v10, v2, vcc_lo
.LBB63_39:                              ;   in Loop: Header=BB63_25 Depth=1
	s_wait_alu 0xfffe
	s_and_not1_saveexec_b32 s4, s27
	s_cbranch_execz .LBB63_41
; %bb.40:                               ;   in Loop: Header=BB63_25 Depth=1
	v_cvt_f32_u32_e32 v2, s20
	s_sub_co_i32 s22, 0, s20
	s_delay_alu instid0(VALU_DEP_1) | instskip(NEXT) | instid1(TRANS32_DEP_1)
	v_rcp_iflag_f32_e32 v2, v2
	v_mul_f32_e32 v2, 0x4f7ffffe, v2
	s_delay_alu instid0(VALU_DEP_1) | instskip(SKIP_1) | instid1(VALU_DEP_1)
	v_cvt_u32_f32_e32 v2, v2
	s_wait_alu 0xfffe
	v_mul_lo_u32 v9, s22, v2
	s_delay_alu instid0(VALU_DEP_1) | instskip(NEXT) | instid1(VALU_DEP_1)
	v_mul_hi_u32 v9, v2, v9
	v_add_nc_u32_e32 v2, v2, v9
	s_delay_alu instid0(VALU_DEP_1) | instskip(NEXT) | instid1(VALU_DEP_1)
	v_mul_hi_u32 v2, v11, v2
	v_mul_lo_u32 v9, v2, s20
	v_add_nc_u32_e32 v10, 1, v2
	s_delay_alu instid0(VALU_DEP_2) | instskip(NEXT) | instid1(VALU_DEP_1)
	v_sub_nc_u32_e32 v9, v11, v9
	v_subrev_nc_u32_e32 v11, s20, v9
	v_cmp_le_u32_e32 vcc_lo, s20, v9
	s_wait_alu 0xfffd
	s_delay_alu instid0(VALU_DEP_2) | instskip(NEXT) | instid1(VALU_DEP_1)
	v_dual_cndmask_b32 v9, v9, v11 :: v_dual_cndmask_b32 v2, v2, v10
	v_cmp_le_u32_e32 vcc_lo, s20, v9
	s_delay_alu instid0(VALU_DEP_2) | instskip(SKIP_1) | instid1(VALU_DEP_1)
	v_add_nc_u32_e32 v10, 1, v2
	s_wait_alu 0xfffd
	v_dual_cndmask_b32 v9, v2, v10 :: v_dual_mov_b32 v10, v1
.LBB63_41:                              ;   in Loop: Header=BB63_25 Depth=1
	s_wait_alu 0xfffe
	s_or_b32 exec_lo, exec_lo, s4
	v_or_b32_e32 v2, s21, v8
                                        ; implicit-def: $vgpr11_vgpr12
	s_mov_b32 s4, exec_lo
	s_delay_alu instid0(VALU_DEP_1)
	v_cmpx_ne_u64_e32 0, v[1:2]
	s_wait_alu 0xfffe
	s_xor_b32 s27, exec_lo, s4
	s_cbranch_execnz .LBB63_47
; %bb.42:                               ;   in Loop: Header=BB63_25 Depth=1
	s_wait_alu 0xfffe
	s_and_not1_saveexec_b32 s4, s27
	s_cbranch_execnz .LBB63_48
.LBB63_43:                              ;   in Loop: Header=BB63_25 Depth=1
	s_wait_alu 0xfffe
	s_or_b32 exec_lo, exec_lo, s4
	s_and_saveexec_b32 s27, s3
	s_cbranch_execnz .LBB63_49
.LBB63_44:                              ;   in Loop: Header=BB63_25 Depth=1
	s_wait_alu 0xfffe
	s_or_b32 exec_lo, exec_lo, s27
	s_and_saveexec_b32 s3, s0
	s_cbranch_execnz .LBB63_54
.LBB63_45:                              ;   in Loop: Header=BB63_25 Depth=1
	s_wait_alu 0xfffe
	s_or_b32 exec_lo, exec_lo, s3
	s_and_saveexec_b32 s0, s1
	s_cbranch_execnz .LBB63_55
.LBB63_46:                              ;   in Loop: Header=BB63_25 Depth=1
	s_wait_alu 0xfffe
	s_or_b32 exec_lo, exec_lo, s0
	s_and_saveexec_b32 s0, s2
	s_cbranch_execz .LBB63_24
	s_branch .LBB63_56
.LBB63_47:                              ;   in Loop: Header=BB63_25 Depth=1
	s_ashr_i32 s22, s21, 31
	v_ashrrev_i32_e32 v2, 31, v8
	s_wait_alu 0xfffe
	s_mov_b32 s23, s22
	s_wait_alu 0xfffe
	s_add_nc_u64 s[24:25], s[20:21], s[22:23]
	v_add_co_u32 v7, vcc_lo, v7, v2
	s_wait_alu 0xfffe
	s_xor_b64 s[24:25], s[24:25], s[22:23]
	s_wait_alu 0xfffd
	v_add_co_ci_u32_e64 v8, null, v8, v2, vcc_lo
	s_wait_alu 0xfffe
	s_cvt_f32_u32 s4, s24
	s_cvt_f32_u32 s23, s25
	s_sub_nc_u64 s[30:31], 0, s[24:25]
	v_xor_b32_e32 v37, v7, v2
	v_xor_b32_e32 v38, v8, v2
	s_wait_alu 0xfffe
	s_fmamk_f32 s4, s23, 0x4f800000, s4
	v_xor_b32_e32 v2, s22, v2
	s_wait_alu 0xfffe
	s_delay_alu instid0(SALU_CYCLE_1) | instskip(NEXT) | instid1(TRANS32_DEP_1)
	v_s_rcp_f32 s4, s4
	s_mul_f32 s4, s4, 0x5f7ffffc
	s_wait_alu 0xfffe
	s_delay_alu instid0(SALU_CYCLE_2) | instskip(SKIP_1) | instid1(SALU_CYCLE_2)
	s_mul_f32 s23, s4, 0x2f800000
	s_wait_alu 0xfffe
	s_trunc_f32 s23, s23
	s_wait_alu 0xfffe
	s_delay_alu instid0(SALU_CYCLE_2) | instskip(SKIP_2) | instid1(SALU_CYCLE_1)
	s_fmamk_f32 s4, s23, 0xcf800000, s4
	s_cvt_u32_f32 s29, s23
	s_wait_alu 0xfffe
	s_cvt_u32_f32 s28, s4
	s_delay_alu instid0(SALU_CYCLE_3) | instskip(NEXT) | instid1(SALU_CYCLE_1)
	s_mul_u64 s[34:35], s[30:31], s[28:29]
	s_mul_hi_u32 s37, s28, s35
	s_mul_i32 s36, s28, s35
	s_mul_hi_u32 s4, s28, s34
	s_mul_i32 s33, s29, s34
	s_wait_alu 0xfffe
	s_add_nc_u64 s[36:37], s[4:5], s[36:37]
	s_mul_hi_u32 s23, s29, s34
	s_mul_hi_u32 s38, s29, s35
	s_add_co_u32 s4, s36, s33
	s_wait_alu 0xfffe
	s_add_co_ci_u32 s4, s37, s23
	s_mul_i32 s34, s29, s35
	s_add_co_ci_u32 s35, s38, 0
	s_wait_alu 0xfffe
	s_add_nc_u64 s[34:35], s[4:5], s[34:35]
	s_delay_alu instid0(SALU_CYCLE_1) | instskip(SKIP_4) | instid1(SALU_CYCLE_1)
	s_add_co_u32 s28, s28, s34
	s_cselect_b32 s4, -1, 0
	s_wait_alu 0xfffe
	s_cmp_lg_u32 s4, 0
	s_add_co_ci_u32 s29, s29, s35
	s_mul_u64 s[30:31], s[30:31], s[28:29]
	s_delay_alu instid0(SALU_CYCLE_1)
	s_mul_hi_u32 s35, s28, s31
	s_mul_i32 s34, s28, s31
	s_mul_hi_u32 s4, s28, s30
	s_mul_i32 s33, s29, s30
	s_wait_alu 0xfffe
	s_add_nc_u64 s[34:35], s[4:5], s[34:35]
	s_mul_hi_u32 s23, s29, s30
	s_mul_hi_u32 s36, s29, s31
	s_add_co_u32 s4, s34, s33
	s_wait_alu 0xfffe
	s_add_co_ci_u32 s4, s35, s23
	s_mul_i32 s30, s29, s31
	s_add_co_ci_u32 s31, s36, 0
	s_wait_alu 0xfffe
	s_add_nc_u64 s[30:31], s[4:5], s[30:31]
	s_delay_alu instid0(SALU_CYCLE_1)
	s_add_co_u32 s4, s28, s30
	s_cselect_b32 s23, -1, 0
	s_wait_alu 0xfffe
	v_mul_hi_u32 v39, v37, s4
	s_cmp_lg_u32 s23, 0
	v_mad_co_u64_u32 v[11:12], null, v38, s4, 0
	s_add_co_ci_u32 s23, s29, s31
	s_wait_alu 0xfffe
	v_mad_co_u64_u32 v[7:8], null, v37, s23, 0
	v_mad_co_u64_u32 v[35:36], null, v38, s23, 0
	s_delay_alu instid0(VALU_DEP_2) | instskip(SKIP_1) | instid1(VALU_DEP_3)
	v_add_co_u32 v7, vcc_lo, v39, v7
	s_wait_alu 0xfffd
	v_add_co_ci_u32_e64 v8, null, 0, v8, vcc_lo
	s_delay_alu instid0(VALU_DEP_2) | instskip(SKIP_1) | instid1(VALU_DEP_2)
	v_add_co_u32 v7, vcc_lo, v7, v11
	s_wait_alu 0xfffd
	v_add_co_ci_u32_e32 v7, vcc_lo, v8, v12, vcc_lo
	s_wait_alu 0xfffd
	v_add_co_ci_u32_e32 v8, vcc_lo, 0, v36, vcc_lo
	s_delay_alu instid0(VALU_DEP_2) | instskip(SKIP_1) | instid1(VALU_DEP_2)
	v_add_co_u32 v11, vcc_lo, v7, v35
	s_wait_alu 0xfffd
	v_add_co_ci_u32_e64 v12, null, 0, v8, vcc_lo
	s_delay_alu instid0(VALU_DEP_2) | instskip(SKIP_1) | instid1(VALU_DEP_3)
	v_mul_lo_u32 v35, s25, v11
	v_mad_co_u64_u32 v[7:8], null, s24, v11, 0
	v_mul_lo_u32 v36, s24, v12
	s_delay_alu instid0(VALU_DEP_2) | instskip(NEXT) | instid1(VALU_DEP_2)
	v_sub_co_u32 v7, vcc_lo, v37, v7
	v_add3_u32 v8, v8, v36, v35
	v_add_co_u32 v36, s4, v11, 2
	s_wait_alu 0xf1ff
	v_add_co_ci_u32_e64 v37, null, 0, v12, s4
	s_delay_alu instid0(VALU_DEP_3) | instskip(SKIP_3) | instid1(VALU_DEP_3)
	v_sub_nc_u32_e32 v35, v38, v8
	v_sub_co_u32 v39, s4, v7, s24
	s_wait_alu 0xfffd
	v_sub_co_ci_u32_e64 v8, null, v38, v8, vcc_lo
	v_subrev_co_ci_u32_e64 v35, null, s25, v35, vcc_lo
	s_delay_alu instid0(VALU_DEP_3) | instskip(SKIP_1) | instid1(VALU_DEP_2)
	v_cmp_le_u32_e32 vcc_lo, s24, v39
	s_wait_alu 0xf1ff
	v_subrev_co_ci_u32_e64 v35, null, 0, v35, s4
	s_wait_alu 0xfffd
	v_cndmask_b32_e64 v38, 0, -1, vcc_lo
	s_delay_alu instid0(VALU_DEP_2)
	v_cmp_le_u32_e32 vcc_lo, s25, v35
	s_wait_alu 0xfffd
	v_cndmask_b32_e64 v39, 0, -1, vcc_lo
	v_cmp_le_u32_e32 vcc_lo, s24, v7
	s_wait_alu 0xfffd
	v_cndmask_b32_e64 v7, 0, -1, vcc_lo
	v_cmp_le_u32_e32 vcc_lo, s25, v8
	s_wait_alu 0xfffd
	v_cndmask_b32_e64 v40, 0, -1, vcc_lo
	v_cmp_eq_u32_e32 vcc_lo, s25, v35
	s_wait_alu 0xfffd
	v_cndmask_b32_e32 v35, v39, v38, vcc_lo
	v_add_co_u32 v38, vcc_lo, v11, 1
	s_wait_alu 0xfffd
	v_add_co_ci_u32_e64 v39, null, 0, v12, vcc_lo
	v_cmp_eq_u32_e32 vcc_lo, s25, v8
	s_wait_alu 0xfffd
	v_cndmask_b32_e32 v7, v40, v7, vcc_lo
	v_cmp_ne_u32_e32 vcc_lo, 0, v35
	s_wait_alu 0xfffd
	v_cndmask_b32_e32 v8, v39, v37, vcc_lo
	s_delay_alu instid0(VALU_DEP_3) | instskip(SKIP_2) | instid1(VALU_DEP_2)
	v_cmp_ne_u32_e64 s4, 0, v7
	v_cndmask_b32_e32 v7, v38, v36, vcc_lo
	s_wait_alu 0xf1ff
	v_cndmask_b32_e64 v8, v12, v8, s4
	s_delay_alu instid0(VALU_DEP_2) | instskip(NEXT) | instid1(VALU_DEP_2)
	v_cndmask_b32_e64 v7, v11, v7, s4
	v_xor_b32_e32 v8, v8, v2
	s_delay_alu instid0(VALU_DEP_2) | instskip(NEXT) | instid1(VALU_DEP_1)
	v_xor_b32_e32 v7, v7, v2
	v_sub_co_u32 v11, vcc_lo, v7, v2
	s_wait_alu 0xfffd
	s_delay_alu instid0(VALU_DEP_3)
	v_sub_co_ci_u32_e64 v12, null, v8, v2, vcc_lo
                                        ; implicit-def: $vgpr7_vgpr8
	s_and_not1_saveexec_b32 s4, s27
	s_cbranch_execz .LBB63_43
.LBB63_48:                              ;   in Loop: Header=BB63_25 Depth=1
	v_cvt_f32_u32_e32 v2, s20
	s_sub_co_i32 s22, 0, s20
	v_mov_b32_e32 v12, v1
	s_delay_alu instid0(VALU_DEP_2) | instskip(NEXT) | instid1(TRANS32_DEP_1)
	v_rcp_iflag_f32_e32 v2, v2
	v_mul_f32_e32 v2, 0x4f7ffffe, v2
	s_delay_alu instid0(VALU_DEP_1) | instskip(SKIP_1) | instid1(VALU_DEP_1)
	v_cvt_u32_f32_e32 v2, v2
	s_wait_alu 0xfffe
	v_mul_lo_u32 v8, s22, v2
	s_delay_alu instid0(VALU_DEP_1) | instskip(NEXT) | instid1(VALU_DEP_1)
	v_mul_hi_u32 v8, v2, v8
	v_add_nc_u32_e32 v2, v2, v8
	s_delay_alu instid0(VALU_DEP_1) | instskip(NEXT) | instid1(VALU_DEP_1)
	v_mul_hi_u32 v2, v7, v2
	v_mul_lo_u32 v8, v2, s20
	s_delay_alu instid0(VALU_DEP_1) | instskip(SKIP_1) | instid1(VALU_DEP_2)
	v_sub_nc_u32_e32 v7, v7, v8
	v_add_nc_u32_e32 v8, 1, v2
	v_subrev_nc_u32_e32 v11, s20, v7
	v_cmp_le_u32_e32 vcc_lo, s20, v7
	s_wait_alu 0xfffd
	s_delay_alu instid0(VALU_DEP_2) | instskip(NEXT) | instid1(VALU_DEP_1)
	v_dual_cndmask_b32 v7, v7, v11 :: v_dual_cndmask_b32 v2, v2, v8
	v_cmp_le_u32_e32 vcc_lo, s20, v7
	s_delay_alu instid0(VALU_DEP_2) | instskip(SKIP_1) | instid1(VALU_DEP_1)
	v_add_nc_u32_e32 v8, 1, v2
	s_wait_alu 0xfffd
	v_cndmask_b32_e32 v11, v2, v8, vcc_lo
	s_or_b32 exec_lo, exec_lo, s4
	s_and_saveexec_b32 s27, s3
	s_cbranch_execz .LBB63_44
.LBB63_49:                              ;   in Loop: Header=BB63_25 Depth=1
	v_or_b32_e32 v2, s21, v4
                                        ; implicit-def: $vgpr7_vgpr8
	s_mov_b32 s3, exec_lo
	s_delay_alu instid0(VALU_DEP_1)
	v_cmpx_ne_u64_e32 0, v[1:2]
	s_wait_alu 0xfffe
	s_xor_b32 s28, exec_lo, s3
	s_cbranch_execz .LBB63_51
; %bb.50:                               ;   in Loop: Header=BB63_25 Depth=1
	s_ashr_i32 s22, s21, 31
	v_ashrrev_i32_e32 v37, 31, v4
	s_wait_alu 0xfffe
	s_mov_b32 s23, s22
	s_wait_alu 0xfffe
	s_add_nc_u64 s[24:25], s[20:21], s[22:23]
	v_add_co_u32 v2, vcc_lo, v3, v37
	s_wait_alu 0xfffe
	s_xor_b64 s[24:25], s[24:25], s[22:23]
	s_wait_alu 0xfffd
	v_add_co_ci_u32_e64 v3, null, v4, v37, vcc_lo
	s_wait_alu 0xfffe
	s_cvt_f32_u32 s3, s24
	s_cvt_f32_u32 s4, s25
	s_sub_nc_u64 s[34:35], 0, s[24:25]
	v_xor_b32_e32 v4, v2, v37
	v_xor_b32_e32 v38, v3, v37
	s_wait_alu 0xfffe
	s_fmamk_f32 s3, s4, 0x4f800000, s3
	s_wait_alu 0xfffe
	s_delay_alu instid0(SALU_CYCLE_2) | instskip(NEXT) | instid1(TRANS32_DEP_1)
	v_s_rcp_f32 s3, s3
	s_mul_f32 s3, s3, 0x5f7ffffc
	s_wait_alu 0xfffe
	s_delay_alu instid0(SALU_CYCLE_2) | instskip(SKIP_1) | instid1(SALU_CYCLE_2)
	s_mul_f32 s4, s3, 0x2f800000
	s_wait_alu 0xfffe
	s_trunc_f32 s4, s4
	s_wait_alu 0xfffe
	s_delay_alu instid0(SALU_CYCLE_2) | instskip(SKIP_2) | instid1(SALU_CYCLE_1)
	s_fmamk_f32 s3, s4, 0xcf800000, s3
	s_cvt_u32_f32 s31, s4
	s_wait_alu 0xfffe
	s_cvt_u32_f32 s30, s3
	s_delay_alu instid0(SALU_CYCLE_3) | instskip(NEXT) | instid1(SALU_CYCLE_1)
	s_mul_u64 s[36:37], s[34:35], s[30:31]
	s_mul_hi_u32 s39, s30, s37
	s_mul_i32 s38, s30, s37
	s_mul_hi_u32 s4, s30, s36
	s_mul_i32 s21, s31, s36
	s_wait_alu 0xfffe
	s_add_nc_u64 s[38:39], s[4:5], s[38:39]
	s_mul_hi_u32 s3, s31, s36
	s_mul_hi_u32 s23, s31, s37
	s_add_co_u32 s4, s38, s21
	s_wait_alu 0xfffe
	s_add_co_ci_u32 s4, s39, s3
	s_mul_i32 s36, s31, s37
	s_add_co_ci_u32 s37, s23, 0
	s_wait_alu 0xfffe
	s_add_nc_u64 s[36:37], s[4:5], s[36:37]
	s_delay_alu instid0(SALU_CYCLE_1) | instskip(SKIP_4) | instid1(SALU_CYCLE_1)
	s_add_co_u32 s30, s30, s36
	s_cselect_b32 s3, -1, 0
	s_wait_alu 0xfffe
	s_cmp_lg_u32 s3, 0
	s_add_co_ci_u32 s31, s31, s37
	s_mul_u64 s[34:35], s[34:35], s[30:31]
	s_delay_alu instid0(SALU_CYCLE_1)
	s_mul_hi_u32 s37, s30, s35
	s_mul_i32 s36, s30, s35
	s_mul_hi_u32 s4, s30, s34
	s_mul_i32 s21, s31, s34
	s_wait_alu 0xfffe
	s_add_nc_u64 s[36:37], s[4:5], s[36:37]
	s_mul_hi_u32 s3, s31, s34
	s_mul_hi_u32 s23, s31, s35
	s_add_co_u32 s4, s36, s21
	s_wait_alu 0xfffe
	s_add_co_ci_u32 s4, s37, s3
	s_mul_i32 s34, s31, s35
	s_add_co_ci_u32 s35, s23, 0
	s_wait_alu 0xfffe
	s_add_nc_u64 s[34:35], s[4:5], s[34:35]
	s_delay_alu instid0(SALU_CYCLE_1)
	s_add_co_u32 s3, s30, s34
	s_cselect_b32 s4, -1, 0
	s_wait_alu 0xfffe
	v_mul_hi_u32 v39, v4, s3
	s_cmp_lg_u32 s4, 0
	v_mad_co_u64_u32 v[7:8], null, v38, s3, 0
	s_add_co_ci_u32 s4, s31, s35
	s_wait_alu 0xfffe
	v_mad_co_u64_u32 v[2:3], null, v4, s4, 0
	v_mad_co_u64_u32 v[35:36], null, v38, s4, 0
	s_delay_alu instid0(VALU_DEP_2) | instskip(SKIP_1) | instid1(VALU_DEP_3)
	v_add_co_u32 v2, vcc_lo, v39, v2
	s_wait_alu 0xfffd
	v_add_co_ci_u32_e64 v3, null, 0, v3, vcc_lo
	s_delay_alu instid0(VALU_DEP_2) | instskip(SKIP_1) | instid1(VALU_DEP_2)
	v_add_co_u32 v2, vcc_lo, v2, v7
	s_wait_alu 0xfffd
	v_add_co_ci_u32_e32 v2, vcc_lo, v3, v8, vcc_lo
	s_wait_alu 0xfffd
	v_add_co_ci_u32_e32 v3, vcc_lo, 0, v36, vcc_lo
	s_delay_alu instid0(VALU_DEP_2) | instskip(SKIP_1) | instid1(VALU_DEP_2)
	v_add_co_u32 v7, vcc_lo, v2, v35
	s_wait_alu 0xfffd
	v_add_co_ci_u32_e64 v8, null, 0, v3, vcc_lo
	s_delay_alu instid0(VALU_DEP_2) | instskip(SKIP_1) | instid1(VALU_DEP_3)
	v_mul_lo_u32 v35, s25, v7
	v_mad_co_u64_u32 v[2:3], null, s24, v7, 0
	v_mul_lo_u32 v36, s24, v8
	s_delay_alu instid0(VALU_DEP_2) | instskip(NEXT) | instid1(VALU_DEP_2)
	v_sub_co_u32 v2, vcc_lo, v4, v2
	v_add3_u32 v3, v3, v36, v35
	s_delay_alu instid0(VALU_DEP_1) | instskip(SKIP_2) | instid1(VALU_DEP_2)
	v_sub_nc_u32_e32 v35, v38, v3
	s_wait_alu 0xfffd
	v_sub_co_ci_u32_e64 v3, null, v38, v3, vcc_lo
	v_subrev_co_ci_u32_e64 v4, null, s25, v35, vcc_lo
	v_add_co_u32 v35, s3, v7, 2
	s_wait_alu 0xf1ff
	v_add_co_ci_u32_e64 v36, null, 0, v8, s3
	v_sub_co_u32 v39, s3, v2, s24
	s_wait_alu 0xf1ff
	v_subrev_co_ci_u32_e64 v4, null, 0, v4, s3
	s_delay_alu instid0(VALU_DEP_2) | instskip(SKIP_2) | instid1(VALU_DEP_3)
	v_cmp_le_u32_e32 vcc_lo, s24, v39
	s_wait_alu 0xfffd
	v_cndmask_b32_e64 v38, 0, -1, vcc_lo
	v_cmp_le_u32_e32 vcc_lo, s25, v4
	s_wait_alu 0xfffd
	v_cndmask_b32_e64 v39, 0, -1, vcc_lo
	;; [unrolled: 3-line block ×4, first 2 shown]
	v_cmp_eq_u32_e32 vcc_lo, s25, v4
	s_wait_alu 0xfffd
	v_cndmask_b32_e32 v4, v39, v38, vcc_lo
	v_add_co_u32 v38, vcc_lo, v7, 1
	s_wait_alu 0xfffd
	v_add_co_ci_u32_e64 v39, null, 0, v8, vcc_lo
	v_cmp_eq_u32_e32 vcc_lo, s25, v3
	s_wait_alu 0xfffd
	v_cndmask_b32_e32 v2, v40, v2, vcc_lo
	v_cmp_ne_u32_e32 vcc_lo, 0, v4
	v_xor_b32_e32 v4, s22, v37
	s_wait_alu 0xfffd
	v_cndmask_b32_e32 v3, v39, v36, vcc_lo
	v_cmp_ne_u32_e64 s3, 0, v2
	v_cndmask_b32_e32 v2, v38, v35, vcc_lo
	s_wait_alu 0xf1ff
	s_delay_alu instid0(VALU_DEP_2) | instskip(NEXT) | instid1(VALU_DEP_2)
	v_cndmask_b32_e64 v3, v8, v3, s3
	v_cndmask_b32_e64 v2, v7, v2, s3
	s_delay_alu instid0(VALU_DEP_2) | instskip(NEXT) | instid1(VALU_DEP_2)
	v_xor_b32_e32 v3, v3, v4
	v_xor_b32_e32 v2, v2, v4
	s_delay_alu instid0(VALU_DEP_1) | instskip(SKIP_1) | instid1(VALU_DEP_3)
	v_sub_co_u32 v7, vcc_lo, v2, v4
	s_wait_alu 0xfffd
	v_sub_co_ci_u32_e64 v8, null, v3, v4, vcc_lo
                                        ; implicit-def: $vgpr3_vgpr4
.LBB63_51:                              ;   in Loop: Header=BB63_25 Depth=1
	s_and_not1_saveexec_b32 s3, s28
	s_cbranch_execz .LBB63_53
; %bb.52:                               ;   in Loop: Header=BB63_25 Depth=1
	v_cvt_f32_u32_e32 v2, s20
	s_sub_co_i32 s4, 0, s20
	v_mov_b32_e32 v8, v1
	s_delay_alu instid0(VALU_DEP_2) | instskip(NEXT) | instid1(TRANS32_DEP_1)
	v_rcp_iflag_f32_e32 v2, v2
	v_mul_f32_e32 v2, 0x4f7ffffe, v2
	s_delay_alu instid0(VALU_DEP_1) | instskip(SKIP_1) | instid1(VALU_DEP_1)
	v_cvt_u32_f32_e32 v2, v2
	s_wait_alu 0xfffe
	v_mul_lo_u32 v4, s4, v2
	s_delay_alu instid0(VALU_DEP_1) | instskip(NEXT) | instid1(VALU_DEP_1)
	v_mul_hi_u32 v4, v2, v4
	v_add_nc_u32_e32 v2, v2, v4
	s_delay_alu instid0(VALU_DEP_1) | instskip(NEXT) | instid1(VALU_DEP_1)
	v_mul_hi_u32 v2, v3, v2
	v_mul_lo_u32 v4, v2, s20
	s_delay_alu instid0(VALU_DEP_1) | instskip(SKIP_1) | instid1(VALU_DEP_2)
	v_sub_nc_u32_e32 v3, v3, v4
	v_add_nc_u32_e32 v4, 1, v2
	v_subrev_nc_u32_e32 v7, s20, v3
	v_cmp_le_u32_e32 vcc_lo, s20, v3
	s_wait_alu 0xfffd
	s_delay_alu instid0(VALU_DEP_2) | instskip(NEXT) | instid1(VALU_DEP_1)
	v_dual_cndmask_b32 v3, v3, v7 :: v_dual_cndmask_b32 v2, v2, v4
	v_cmp_le_u32_e32 vcc_lo, s20, v3
	s_delay_alu instid0(VALU_DEP_2) | instskip(SKIP_1) | instid1(VALU_DEP_1)
	v_add_nc_u32_e32 v4, 1, v2
	s_wait_alu 0xfffd
	v_cndmask_b32_e32 v7, v2, v4, vcc_lo
.LBB63_53:                              ;   in Loop: Header=BB63_25 Depth=1
	s_wait_alu 0xfffe
	s_or_b32 exec_lo, exec_lo, s3
	v_add_co_u32 v2, vcc_lo, v15, s6
	s_wait_alu 0xfffd
	v_add_co_ci_u32_e64 v3, null, s7, v16, vcc_lo
	global_store_b64 v[2:3], v[7:8], off
	s_or_b32 exec_lo, exec_lo, s27
	s_and_saveexec_b32 s3, s0
	s_cbranch_execz .LBB63_45
.LBB63_54:                              ;   in Loop: Header=BB63_25 Depth=1
	v_add_co_u32 v2, vcc_lo, v33, s6
	s_wait_alu 0xfffd
	v_add_co_ci_u32_e64 v3, null, s7, v34, vcc_lo
	global_store_b64 v[2:3], v[5:6], off
	s_wait_alu 0xfffe
	s_or_b32 exec_lo, exec_lo, s3
	s_and_saveexec_b32 s0, s1
	s_cbranch_execz .LBB63_46
.LBB63_55:                              ;   in Loop: Header=BB63_25 Depth=1
	v_add_co_u32 v2, vcc_lo, v26, s6
	s_wait_alu 0xfffd
	v_add_co_ci_u32_e64 v3, null, s7, v27, vcc_lo
	global_store_b64 v[2:3], v[9:10], off
	s_wait_alu 0xfffe
	s_or_b32 exec_lo, exec_lo, s0
	s_and_saveexec_b32 s0, s2
	s_cbranch_execz .LBB63_24
.LBB63_56:                              ;   in Loop: Header=BB63_25 Depth=1
	v_add_co_u32 v2, vcc_lo, v19, s6
	s_wait_alu 0xfffd
	v_add_co_ci_u32_e64 v3, null, s7, v20, vcc_lo
	global_store_b64 v[2:3], v[11:12], off
	s_branch .LBB63_24
.LBB63_57:
	s_endpgm
	.section	.rodata,"a",@progbits
	.p2align	6, 0x0
	.amdhsa_kernel _ZN2at6native12_GLOBAL__N_125multi_tensor_apply_kernelINS1_18TensorListMetadataILi2EEENS1_27BinaryOpScalarTensorFunctorIlLi2ELi1ELi1EEEJSt7dividesIlEPllEEEvT_T0_DpT1_
		.amdhsa_group_segment_fixed_size 0
		.amdhsa_private_segment_fixed_size 0
		.amdhsa_kernarg_size 3424
		.amdhsa_user_sgpr_count 2
		.amdhsa_user_sgpr_dispatch_ptr 0
		.amdhsa_user_sgpr_queue_ptr 0
		.amdhsa_user_sgpr_kernarg_segment_ptr 1
		.amdhsa_user_sgpr_dispatch_id 0
		.amdhsa_user_sgpr_private_segment_size 0
		.amdhsa_wavefront_size32 1
		.amdhsa_uses_dynamic_stack 0
		.amdhsa_enable_private_segment 0
		.amdhsa_system_sgpr_workgroup_id_x 1
		.amdhsa_system_sgpr_workgroup_id_y 0
		.amdhsa_system_sgpr_workgroup_id_z 0
		.amdhsa_system_sgpr_workgroup_info 0
		.amdhsa_system_vgpr_workitem_id 0
		.amdhsa_next_free_vgpr 41
		.amdhsa_next_free_sgpr 40
		.amdhsa_reserve_vcc 1
		.amdhsa_float_round_mode_32 0
		.amdhsa_float_round_mode_16_64 0
		.amdhsa_float_denorm_mode_32 3
		.amdhsa_float_denorm_mode_16_64 3
		.amdhsa_fp16_overflow 0
		.amdhsa_workgroup_processor_mode 1
		.amdhsa_memory_ordered 1
		.amdhsa_forward_progress 1
		.amdhsa_inst_pref_size 75
		.amdhsa_round_robin_scheduling 0
		.amdhsa_exception_fp_ieee_invalid_op 0
		.amdhsa_exception_fp_denorm_src 0
		.amdhsa_exception_fp_ieee_div_zero 0
		.amdhsa_exception_fp_ieee_overflow 0
		.amdhsa_exception_fp_ieee_underflow 0
		.amdhsa_exception_fp_ieee_inexact 0
		.amdhsa_exception_int_div_zero 0
	.end_amdhsa_kernel
	.section	.text._ZN2at6native12_GLOBAL__N_125multi_tensor_apply_kernelINS1_18TensorListMetadataILi2EEENS1_27BinaryOpScalarTensorFunctorIlLi2ELi1ELi1EEEJSt7dividesIlEPllEEEvT_T0_DpT1_,"axG",@progbits,_ZN2at6native12_GLOBAL__N_125multi_tensor_apply_kernelINS1_18TensorListMetadataILi2EEENS1_27BinaryOpScalarTensorFunctorIlLi2ELi1ELi1EEEJSt7dividesIlEPllEEEvT_T0_DpT1_,comdat
.Lfunc_end63:
	.size	_ZN2at6native12_GLOBAL__N_125multi_tensor_apply_kernelINS1_18TensorListMetadataILi2EEENS1_27BinaryOpScalarTensorFunctorIlLi2ELi1ELi1EEEJSt7dividesIlEPllEEEvT_T0_DpT1_, .Lfunc_end63-_ZN2at6native12_GLOBAL__N_125multi_tensor_apply_kernelINS1_18TensorListMetadataILi2EEENS1_27BinaryOpScalarTensorFunctorIlLi2ELi1ELi1EEEJSt7dividesIlEPllEEEvT_T0_DpT1_
                                        ; -- End function
	.set _ZN2at6native12_GLOBAL__N_125multi_tensor_apply_kernelINS1_18TensorListMetadataILi2EEENS1_27BinaryOpScalarTensorFunctorIlLi2ELi1ELi1EEEJSt7dividesIlEPllEEEvT_T0_DpT1_.num_vgpr, 41
	.set _ZN2at6native12_GLOBAL__N_125multi_tensor_apply_kernelINS1_18TensorListMetadataILi2EEENS1_27BinaryOpScalarTensorFunctorIlLi2ELi1ELi1EEEJSt7dividesIlEPllEEEvT_T0_DpT1_.num_agpr, 0
	.set _ZN2at6native12_GLOBAL__N_125multi_tensor_apply_kernelINS1_18TensorListMetadataILi2EEENS1_27BinaryOpScalarTensorFunctorIlLi2ELi1ELi1EEEJSt7dividesIlEPllEEEvT_T0_DpT1_.numbered_sgpr, 40
	.set _ZN2at6native12_GLOBAL__N_125multi_tensor_apply_kernelINS1_18TensorListMetadataILi2EEENS1_27BinaryOpScalarTensorFunctorIlLi2ELi1ELi1EEEJSt7dividesIlEPllEEEvT_T0_DpT1_.num_named_barrier, 0
	.set _ZN2at6native12_GLOBAL__N_125multi_tensor_apply_kernelINS1_18TensorListMetadataILi2EEENS1_27BinaryOpScalarTensorFunctorIlLi2ELi1ELi1EEEJSt7dividesIlEPllEEEvT_T0_DpT1_.private_seg_size, 0
	.set _ZN2at6native12_GLOBAL__N_125multi_tensor_apply_kernelINS1_18TensorListMetadataILi2EEENS1_27BinaryOpScalarTensorFunctorIlLi2ELi1ELi1EEEJSt7dividesIlEPllEEEvT_T0_DpT1_.uses_vcc, 1
	.set _ZN2at6native12_GLOBAL__N_125multi_tensor_apply_kernelINS1_18TensorListMetadataILi2EEENS1_27BinaryOpScalarTensorFunctorIlLi2ELi1ELi1EEEJSt7dividesIlEPllEEEvT_T0_DpT1_.uses_flat_scratch, 0
	.set _ZN2at6native12_GLOBAL__N_125multi_tensor_apply_kernelINS1_18TensorListMetadataILi2EEENS1_27BinaryOpScalarTensorFunctorIlLi2ELi1ELi1EEEJSt7dividesIlEPllEEEvT_T0_DpT1_.has_dyn_sized_stack, 0
	.set _ZN2at6native12_GLOBAL__N_125multi_tensor_apply_kernelINS1_18TensorListMetadataILi2EEENS1_27BinaryOpScalarTensorFunctorIlLi2ELi1ELi1EEEJSt7dividesIlEPllEEEvT_T0_DpT1_.has_recursion, 0
	.set _ZN2at6native12_GLOBAL__N_125multi_tensor_apply_kernelINS1_18TensorListMetadataILi2EEENS1_27BinaryOpScalarTensorFunctorIlLi2ELi1ELi1EEEJSt7dividesIlEPllEEEvT_T0_DpT1_.has_indirect_call, 0
	.section	.AMDGPU.csdata,"",@progbits
; Kernel info:
; codeLenInByte = 9504
; TotalNumSgprs: 42
; NumVgprs: 41
; ScratchSize: 0
; MemoryBound: 1
; FloatMode: 240
; IeeeMode: 1
; LDSByteSize: 0 bytes/workgroup (compile time only)
; SGPRBlocks: 0
; VGPRBlocks: 5
; NumSGPRsForWavesPerEU: 42
; NumVGPRsForWavesPerEU: 41
; Occupancy: 16
; WaveLimiterHint : 0
; COMPUTE_PGM_RSRC2:SCRATCH_EN: 0
; COMPUTE_PGM_RSRC2:USER_SGPR: 2
; COMPUTE_PGM_RSRC2:TRAP_HANDLER: 0
; COMPUTE_PGM_RSRC2:TGID_X_EN: 1
; COMPUTE_PGM_RSRC2:TGID_Y_EN: 0
; COMPUTE_PGM_RSRC2:TGID_Z_EN: 0
; COMPUTE_PGM_RSRC2:TIDIG_COMP_CNT: 0
	.section	.text._ZN2at6native12_GLOBAL__N_125multi_tensor_apply_kernelINS1_18TensorListMetadataILi2EEENS1_27BinaryOpScalarTensorFunctorIsLi2ELi1ELi1EEEJSt7dividesIsEPssEEEvT_T0_DpT1_,"axG",@progbits,_ZN2at6native12_GLOBAL__N_125multi_tensor_apply_kernelINS1_18TensorListMetadataILi2EEENS1_27BinaryOpScalarTensorFunctorIsLi2ELi1ELi1EEEJSt7dividesIsEPssEEEvT_T0_DpT1_,comdat
	.globl	_ZN2at6native12_GLOBAL__N_125multi_tensor_apply_kernelINS1_18TensorListMetadataILi2EEENS1_27BinaryOpScalarTensorFunctorIsLi2ELi1ELi1EEEJSt7dividesIsEPssEEEvT_T0_DpT1_ ; -- Begin function _ZN2at6native12_GLOBAL__N_125multi_tensor_apply_kernelINS1_18TensorListMetadataILi2EEENS1_27BinaryOpScalarTensorFunctorIsLi2ELi1ELi1EEEJSt7dividesIsEPssEEEvT_T0_DpT1_
	.p2align	8
	.type	_ZN2at6native12_GLOBAL__N_125multi_tensor_apply_kernelINS1_18TensorListMetadataILi2EEENS1_27BinaryOpScalarTensorFunctorIsLi2ELi1ELi1EEEJSt7dividesIsEPssEEEvT_T0_DpT1_,@function
_ZN2at6native12_GLOBAL__N_125multi_tensor_apply_kernelINS1_18TensorListMetadataILi2EEENS1_27BinaryOpScalarTensorFunctorIsLi2ELi1ELi1EEEJSt7dividesIsEPssEEEvT_T0_DpT1_: ; @_ZN2at6native12_GLOBAL__N_125multi_tensor_apply_kernelINS1_18TensorListMetadataILi2EEENS1_27BinaryOpScalarTensorFunctorIsLi2ELi1ELi1EEEJSt7dividesIsEPssEEEvT_T0_DpT1_
; %bb.0:
	s_mov_b32 s2, ttmp9
	s_mov_b32 s3, 0
	s_delay_alu instid0(SALU_CYCLE_1)
	s_mul_u64 s[4:5], s[2:3], 3
	s_add_nc_u64 s[6:7], s[0:1], s[2:3]
	s_mov_b32 s15, s3
	s_add_nc_u64 s[4:5], s[6:7], s[4:5]
	s_clause 0x1
	s_load_b32 s4, s[4:5], 0x740
	s_load_u8 s2, s[0:1], ttmp9 offset:0x600
	s_mov_b32 s17, s3
	s_wait_kmcnt 0x0
	s_ashr_i32 s5, s4, 31
	s_lshl_b32 s2, s2, 3
	s_clause 0x3
	s_load_b64 s[18:19], s[0:1], s2 offset:0x0
	s_load_b64 s[20:21], s[0:1], s2 offset:0x200
	;; [unrolled: 1-line block ×3, first 2 shown]
	s_load_b96 s[8:10], s[0:1], 0xc50
	s_lshl_b64 s[6:7], s[4:5], 17
	s_lshl_b64 s[4:5], s[4:5], 16
	s_wait_kmcnt 0x0
	s_add_nc_u64 s[22:23], s[18:19], s[6:7]
	s_and_b32 s14, s20, 7
	s_and_b32 s16, s12, 3
	;; [unrolled: 1-line block ×3, first 2 shown]
	s_or_b64 s[14:15], s[14:15], s[16:17]
	s_delay_alu instid0(SALU_CYCLE_1)
	s_or_b64 s[2:3], s[14:15], s[2:3]
	s_sub_nc_u64 s[14:15], s[12:13], s[4:5]
	s_cmp_eq_u64 s[2:3], 0
	s_mov_b32 s2, -1
	s_cbranch_scc0 .LBB64_5
; %bb.1:
	v_cmp_gt_i64_e64 s2, 0x10000, s[14:15]
	v_dual_mov_b32 v2, 0 :: v_dual_lshlrev_b32 v1, 2, v0
	s_mov_b32 s5, exec_lo
	s_and_b32 s2, s2, exec_lo
	s_cselect_b32 s13, s15, 0
	s_cselect_b32 s12, s14, 0x10000
	s_delay_alu instid0(SALU_CYCLE_1)
	v_cmpx_gt_i64_e64 s[12:13], v[1:2]
	s_cbranch_execz .LBB64_4
; %bb.2:
	s_load_b32 s2, s[0:1], 0xc6c
	v_lshlrev_b32_e32 v3, 3, v0
	v_mov_b32_e32 v1, v2
	s_mov_b32 s16, 0
	s_delay_alu instid0(VALU_DEP_2) | instskip(NEXT) | instid1(VALU_DEP_1)
	v_add_co_u32 v5, s3, s6, v3
	v_add_co_ci_u32_e64 v6, null, s7, 0, s3
	s_delay_alu instid0(VALU_DEP_3) | instskip(SKIP_2) | instid1(SALU_CYCLE_1)
	v_dual_mov_b32 v4, v1 :: v_dual_mov_b32 v3, v0
	s_wait_kmcnt 0x0
	s_and_b32 s11, s2, 0xffff
	s_lshl_b32 s17, s11, 3
.LBB64_3:                               ; =>This Inner Loop Header: Depth=1
	global_load_u16 v1, v2, s[8:9]
	v_add_co_u32 v7, vcc_lo, s18, v5
	s_wait_alu 0xfffd
	v_add_co_ci_u32_e64 v8, null, s19, v6, vcc_lo
	v_add_co_u32 v3, vcc_lo, v3, s11
	s_wait_alu 0xfffd
	v_add_co_ci_u32_e64 v4, null, 0, v4, vcc_lo
	global_load_b64 v[7:8], v[7:8], off
	v_add_co_u32 v9, vcc_lo, s20, v5
	s_wait_alu 0xfffd
	v_add_co_ci_u32_e64 v10, null, s21, v6, vcc_lo
	v_lshlrev_b64_e32 v[11:12], 2, v[3:4]
	s_wait_loadcnt 0x1
	v_readfirstlane_b32 s2, v1
	s_mul_i32 s2, s2, s10
	s_wait_alu 0xfffe
	s_sext_i32_i16 s2, s2
	s_wait_loadcnt 0x0
	v_ashrrev_i32_e32 v1, 16, v7
	s_wait_alu 0xfffe
	s_abs_i32 s22, s2
	s_ashr_i32 s3, s2, 31
	s_wait_alu 0xfffe
	s_cvt_f32_u32 s2, s22
	v_ashrrev_i32_e32 v14, 16, v8
	v_bfe_i32 v13, v7, 0, 16
	v_bfe_i32 v15, v8, 0, 16
	s_wait_alu 0xfffe
	v_rcp_iflag_f32_e32 v22, s2
	v_sub_nc_u32_e32 v18, 0, v1
	v_sub_nc_u32_e32 v21, 0, v14
	v_ashrrev_i32_e32 v7, 31, v7
	v_ashrrev_i32_e32 v8, 31, v8
	;; [unrolled: 1-line block ×3, first 2 shown]
	v_sub_nc_u32_e32 v17, 0, v13
	v_ashrrev_i32_e32 v19, 31, v15
	s_sub_co_i32 s4, 0, s22
	v_max_i32_e32 v1, v1, v18
	v_readfirstlane_b32 s2, v22
	v_max_i32_e32 v14, v14, v21
	v_xor_b32_e32 v7, s3, v7
	v_xor_b32_e32 v8, s3, v8
	;; [unrolled: 1-line block ×3, first 2 shown]
	s_mul_f32 s2, s2, 0x4f7ffffe
	v_max_i32_e32 v13, v13, v17
	v_xor_b32_e32 v17, s3, v19
	v_sub_nc_u32_e32 v20, 0, v15
	s_wait_alu 0xfffe
	s_cvt_u32_f32 s2, s2
	s_delay_alu instid0(VALU_DEP_1) | instskip(SKIP_1) | instid1(SALU_CYCLE_1)
	v_max_i32_e32 v15, v15, v20
	s_wait_alu 0xfffe
	s_mul_i32 s4, s4, s2
	s_wait_alu 0xfffe
	s_mul_hi_u32 s3, s2, s4
	s_wait_alu 0xfffe
	s_add_co_i32 s2, s2, s3
	s_wait_alu 0xfffe
	v_mul_hi_u32 v19, v1, s2
	v_mul_hi_u32 v21, v14, s2
	;; [unrolled: 1-line block ×4, first 2 shown]
	s_delay_alu instid0(VALU_DEP_4) | instskip(NEXT) | instid1(VALU_DEP_4)
	v_mul_u32_u24_e32 v24, s22, v19
	v_mul_u32_u24_e32 v28, s22, v21
	s_delay_alu instid0(VALU_DEP_4)
	v_mul_u32_u24_e32 v22, s22, v18
	v_add_nc_u32_e32 v25, 1, v19
	v_mul_u32_u24_e32 v26, s22, v20
	v_sub_nc_u32_e32 v1, v1, v24
	v_sub_nc_u32_e32 v14, v14, v28
	v_add_nc_u32_e32 v29, 1, v21
	v_sub_nc_u32_e32 v13, v13, v22
	v_sub_nc_u32_e32 v15, v15, v26
	v_cmp_le_u32_e64 s2, s22, v1
	v_cmp_le_u32_e64 s4, s22, v14
	s_delay_alu instid0(VALU_DEP_4)
	v_cmp_le_u32_e32 vcc_lo, s22, v13
	v_subrev_nc_u32_e32 v22, s22, v13
	s_wait_alu 0xf1ff
	v_cndmask_b32_e64 v19, v19, v25, s2
	v_cndmask_b32_e64 v21, v21, v29, s4
	v_subrev_nc_u32_e32 v25, s22, v14
	v_cmp_le_u32_e64 s3, s22, v15
	v_subrev_nc_u32_e32 v24, s22, v15
	s_delay_alu instid0(VALU_DEP_3)
	v_cndmask_b32_e64 v14, v14, v25, s4
	v_add_nc_u32_e32 v25, 1, v21
	v_add_nc_u32_e32 v23, 1, v18
	;; [unrolled: 1-line block ×3, first 2 shown]
	s_wait_alu 0xf1ff
	v_cndmask_b32_e64 v15, v15, v24, s3
	s_wait_alu 0xfffd
	v_cndmask_b32_e32 v18, v18, v23, vcc_lo
	v_cndmask_b32_e64 v20, v20, v27, s3
	v_cndmask_b32_e32 v13, v13, v22, vcc_lo
	v_subrev_nc_u32_e32 v23, s22, v1
	s_delay_alu instid0(VALU_DEP_3) | instskip(SKIP_1) | instid1(VALU_DEP_4)
	v_add_nc_u32_e32 v24, 1, v20
	v_add_nc_u32_e32 v22, 1, v18
	v_cmp_le_u32_e32 vcc_lo, s22, v13
	s_delay_alu instid0(VALU_DEP_4)
	v_cndmask_b32_e64 v1, v1, v23, s2
	v_add_nc_u32_e32 v23, 1, v19
	v_cmp_le_i64_e64 s2, s[12:13], v[11:12]
	s_wait_alu 0xfffd
	v_cndmask_b32_e32 v13, v18, v22, vcc_lo
	v_cmp_le_u32_e32 vcc_lo, s22, v15
	s_or_b32 s16, s2, s16
	s_delay_alu instid0(VALU_DEP_2) | instskip(SKIP_3) | instid1(VALU_DEP_3)
	v_xor_b32_e32 v13, v13, v16
	s_wait_alu 0xfffd
	v_cndmask_b32_e32 v15, v20, v24, vcc_lo
	v_cmp_le_u32_e32 vcc_lo, s22, v14
	v_sub_nc_u32_e32 v13, v13, v16
	s_delay_alu instid0(VALU_DEP_3) | instskip(SKIP_3) | instid1(VALU_DEP_3)
	v_xor_b32_e32 v15, v15, v17
	s_wait_alu 0xfffd
	v_cndmask_b32_e32 v14, v21, v25, vcc_lo
	v_cmp_le_u32_e32 vcc_lo, s22, v1
	v_sub_nc_u32_e32 v15, v15, v17
	s_delay_alu instid0(VALU_DEP_3)
	v_xor_b32_e32 v14, v14, v8
	s_wait_alu 0xfffd
	v_cndmask_b32_e32 v1, v19, v23, vcc_lo
	v_add_co_u32 v5, vcc_lo, v5, s17
	s_wait_alu 0xfffd
	v_add_co_ci_u32_e64 v6, null, 0, v6, vcc_lo
	s_delay_alu instid0(VALU_DEP_3) | instskip(SKIP_1) | instid1(VALU_DEP_2)
	v_xor_b32_e32 v1, v1, v7
	v_sub_nc_u32_e32 v8, v14, v8
	v_sub_nc_u32_e32 v1, v1, v7
	s_delay_alu instid0(VALU_DEP_2) | instskip(NEXT) | instid1(VALU_DEP_2)
	v_perm_b32 v8, v8, v15, 0x5040100
	v_perm_b32 v7, v1, v13, 0x5040100
	global_store_b64 v[9:10], v[7:8], off
	s_wait_alu 0xfffe
	s_and_not1_b32 exec_lo, exec_lo, s16
	s_cbranch_execnz .LBB64_3
.LBB64_4:
	s_or_b32 exec_lo, exec_lo, s5
	s_mov_b32 s2, 0
.LBB64_5:
	s_wait_alu 0xfffe
	s_and_not1_b32 vcc_lo, exec_lo, s2
	s_wait_alu 0xfffe
	s_cbranch_vccnz .LBB64_25
; %bb.6:
	v_cmp_lt_i64_e64 s2, s[14:15], 1
	s_and_b32 vcc_lo, exec_lo, s2
	s_wait_alu 0xfffe
	s_cbranch_vccnz .LBB64_25
; %bb.7:
	s_load_b32 s0, s[0:1], 0xc6c
	v_cmp_gt_i64_e64 s1, 0x10000, s[14:15]
	v_dual_mov_b32 v2, 0 :: v_dual_lshlrev_b32 v1, 1, v0
	v_cmp_gt_u64_e64 s2, 0x10000, s[14:15]
	v_mov_b32_e32 v24, 0
	s_mov_b32 s17, 0
	s_and_b32 s1, s1, exec_lo
	v_add_co_u32 v3, s3, s18, v1
	s_cselect_b32 s13, s15, 0
	s_cselect_b32 s12, s14, 0x10000
	v_add_co_ci_u32_e64 v4, null, s19, 0, s3
	v_add_co_u32 v5, s3, s20, v1
	s_wait_alu 0xf1ff
	v_add_co_ci_u32_e64 v6, null, s21, 0, s3
	v_mov_b32_e32 v25, 0
	s_wait_kmcnt 0x0
	s_and_b32 s0, s0, 0xffff
	s_and_b32 s1, s2, exec_lo
	s_cselect_b32 s15, s15, 0
	s_cselect_b32 s14, s14, 0x10000
	s_mul_i32 s2, s0, 3
	s_lshl_b32 s16, s0, 2
	v_mad_co_u64_u32 v[9:10], null, s0, 6, v[1:2]
	s_wait_alu 0xfffe
	v_add_co_u32 v15, s3, s16, v1
	v_add_co_u32 v1, s2, s2, v0
	s_wait_alu 0xf1ff
	v_add_co_ci_u32_e64 v11, null, 0, 0, s2
	v_add_co_u32 v14, s2, v0, s0
	s_lshl_b32 s1, s0, 1
	v_add_co_u32 v7, vcc_lo, s18, v9
	v_lshlrev_b32_e32 v22, 1, v14
	v_add_co_ci_u32_e64 v16, null, 0, 0, s3
	s_wait_alu 0xfffd
	v_add_co_ci_u32_e64 v8, null, s19, v10, vcc_lo
	v_add_co_u32 v9, vcc_lo, s20, v9
	s_wait_alu 0xfffe
	v_add_co_u32 v18, s1, s1, v0
	s_wait_alu 0xfffd
	v_add_co_ci_u32_e64 v10, null, s21, v10, vcc_lo
	v_add_co_u32 v12, vcc_lo, s18, v15
	s_wait_alu 0xf1ff
	v_add_co_ci_u32_e64 v19, null, 0, 0, s1
	v_add_co_u32 v20, s1, s18, v22
	s_wait_alu 0xfffd
	v_add_co_ci_u32_e64 v13, null, s19, v16, vcc_lo
	v_add_co_u32 v15, vcc_lo, s20, v15
	s_wait_alu 0xf1ff
	v_add_co_ci_u32_e64 v21, null, s19, 0, s1
	v_add_co_u32 v22, s1, s20, v22
	s_wait_alu 0xfffd
	v_add_co_ci_u32_e64 v16, null, s21, v16, vcc_lo
	v_add_co_ci_u32_e64 v17, null, 0, 0, s2
	s_wait_alu 0xf1ff
	v_add_co_ci_u32_e64 v23, null, s21, 0, s1
	s_lshl_b32 s5, s0, 3
	s_mov_b64 s[18:19], 0
	s_branch .LBB64_9
.LBB64_8:                               ;   in Loop: Header=BB64_9 Depth=1
	s_wait_alu 0xfffe
	s_or_b32 exec_lo, exec_lo, s1
	v_add_co_u32 v3, vcc_lo, v3, s5
	s_wait_alu 0xfffd
	v_add_co_ci_u32_e64 v4, null, 0, v4, vcc_lo
	v_add_co_u32 v5, vcc_lo, v5, s5
	s_wait_alu 0xfffd
	v_add_co_ci_u32_e64 v6, null, 0, v6, vcc_lo
	;; [unrolled: 3-line block ×5, first 2 shown]
	v_add_co_u32 v15, vcc_lo, v15, s5
	s_add_nc_u64 s[18:19], s[18:19], s[16:17]
	s_wait_alu 0xfffd
	v_add_co_ci_u32_e64 v16, null, 0, v16, vcc_lo
	v_add_co_u32 v20, vcc_lo, v20, s5
	s_wait_alu 0xfffe
	v_cmp_ge_i64_e64 s0, s[18:19], s[12:13]
	s_wait_alu 0xfffd
	v_add_co_ci_u32_e64 v21, null, 0, v21, vcc_lo
	v_add_co_u32 v22, vcc_lo, v22, s5
	s_wait_alu 0xfffd
	v_add_co_ci_u32_e64 v23, null, 0, v23, vcc_lo
	s_and_b32 vcc_lo, exec_lo, s0
	s_wait_alu 0xfffe
	s_cbranch_vccnz .LBB64_25
.LBB64_9:                               ; =>This Inner Loop Header: Depth=1
	s_wait_alu 0xfffe
	v_add_co_u32 v26, s0, v0, s18
	s_wait_alu 0xf1ff
	v_add_co_ci_u32_e64 v27, null, 0, s19, s0
	v_and_b32_e32 v25, 0xffff0000, v25
	s_delay_alu instid0(VALU_DEP_2)
	v_cmp_gt_u64_e64 s1, s[14:15], v[26:27]
	s_and_saveexec_b32 s0, s1
	s_cbranch_execz .LBB64_11
; %bb.10:                               ;   in Loop: Header=BB64_9 Depth=1
	v_add_co_u32 v26, vcc_lo, v3, s6
	s_wait_alu 0xfffd
	v_add_co_ci_u32_e64 v27, null, s7, v4, vcc_lo
	global_load_d16_b16 v25, v[26:27], off
.LBB64_11:                              ;   in Loop: Header=BB64_9 Depth=1
	s_wait_alu 0xfffe
	s_or_b32 exec_lo, exec_lo, s0
	v_add_co_u32 v26, vcc_lo, v14, s18
	s_wait_alu 0xfffd
	v_add_co_ci_u32_e64 v27, null, s19, v17, vcc_lo
	s_wait_loadcnt 0x0
	v_and_b32_e32 v25, 0xffff, v25
	s_delay_alu instid0(VALU_DEP_2)
	v_cmp_gt_u64_e64 s2, s[14:15], v[26:27]
	s_and_saveexec_b32 s0, s2
	s_cbranch_execz .LBB64_13
; %bb.12:                               ;   in Loop: Header=BB64_9 Depth=1
	v_add_co_u32 v26, vcc_lo, v20, s6
	s_wait_alu 0xfffd
	v_add_co_ci_u32_e64 v27, null, s7, v21, vcc_lo
	global_load_d16_hi_b16 v25, v[26:27], off
.LBB64_13:                              ;   in Loop: Header=BB64_9 Depth=1
	s_wait_alu 0xfffe
	s_or_b32 exec_lo, exec_lo, s0
	v_add_co_u32 v26, vcc_lo, v18, s18
	s_wait_alu 0xfffd
	v_add_co_ci_u32_e64 v27, null, s19, v19, vcc_lo
	v_and_b32_e32 v24, 0xffff0000, v24
	s_delay_alu instid0(VALU_DEP_2)
	v_cmp_gt_u64_e32 vcc_lo, s[14:15], v[26:27]
	s_and_saveexec_b32 s3, vcc_lo
	s_cbranch_execz .LBB64_15
; %bb.14:                               ;   in Loop: Header=BB64_9 Depth=1
	v_add_co_u32 v26, s0, v12, s6
	s_wait_alu 0xf1ff
	v_add_co_ci_u32_e64 v27, null, s7, v13, s0
	global_load_d16_b16 v24, v[26:27], off
.LBB64_15:                              ;   in Loop: Header=BB64_9 Depth=1
	s_wait_alu 0xfffe
	s_or_b32 exec_lo, exec_lo, s3
	v_add_co_u32 v26, s0, v1, s18
	s_wait_alu 0xf1ff
	v_add_co_ci_u32_e64 v27, null, s19, v11, s0
	s_wait_loadcnt 0x0
	v_and_b32_e32 v24, 0xffff, v24
	s_delay_alu instid0(VALU_DEP_2)
	v_cmp_gt_u64_e64 s0, s[14:15], v[26:27]
	s_and_saveexec_b32 s4, s0
	s_cbranch_execz .LBB64_17
; %bb.16:                               ;   in Loop: Header=BB64_9 Depth=1
	v_add_co_u32 v26, s3, v7, s6
	s_wait_alu 0xf1ff
	v_add_co_ci_u32_e64 v27, null, s7, v8, s3
	global_load_d16_hi_b16 v24, v[26:27], off
.LBB64_17:                              ;   in Loop: Header=BB64_9 Depth=1
	s_wait_alu 0xfffe
	s_or_b32 exec_lo, exec_lo, s4
	global_load_u16 v26, v2, s[8:9]
	v_ashrrev_i32_e32 v27, 16, v25
	s_delay_alu instid0(VALU_DEP_1) | instskip(NEXT) | instid1(VALU_DEP_1)
	v_sub_nc_u32_e32 v29, 0, v27
	v_max_i32_e32 v27, v27, v29
	s_wait_loadcnt 0x0
	v_readfirstlane_b32 s3, v26
	s_mul_i32 s3, s3, s10
	s_wait_alu 0xfffe
	s_sext_i32_i16 s3, s3
	s_wait_alu 0xfffe
	s_abs_i32 s11, s3
	s_ashr_i32 s20, s3, 31
	s_wait_alu 0xfffe
	s_cvt_f32_u32 s4, s11
	s_wait_alu 0xfffe
	s_delay_alu instid0(SALU_CYCLE_2) | instskip(NEXT) | instid1(TRANS32_DEP_1)
	v_rcp_iflag_f32_e32 v26, s4
	v_readfirstlane_b32 s4, v26
	v_bfe_i32 v26, v25, 0, 16
	v_ashrrev_i32_e32 v25, 31, v25
	s_mul_f32 s4, s4, 0x4f7ffffe
	s_delay_alu instid0(VALU_DEP_2) | instskip(NEXT) | instid1(VALU_DEP_2)
	v_sub_nc_u32_e32 v28, 0, v26
	v_xor_b32_e32 v25, s20, v25
	s_wait_alu 0xfffe
	s_cvt_u32_f32 s21, s4
	s_sub_co_i32 s4, 0, s11
	v_max_i32_e32 v28, v26, v28
	v_ashrrev_i32_e32 v26, 31, v26
	s_wait_alu 0xfffe
	s_mul_i32 s4, s4, s21
	s_wait_alu 0xfffe
	s_mul_hi_u32 s4, s21, s4
	v_xor_b32_e32 v26, s20, v26
	s_wait_alu 0xfffe
	s_add_co_i32 s21, s21, s4
	s_wait_alu 0xfffe
	v_mul_hi_u32 v29, v28, s21
	v_mul_hi_u32 v30, v27, s21
	s_delay_alu instid0(VALU_DEP_2) | instskip(NEXT) | instid1(VALU_DEP_2)
	v_mul_u32_u24_e32 v31, s11, v29
	v_mul_u32_u24_e32 v32, s11, v30
	s_delay_alu instid0(VALU_DEP_2) | instskip(SKIP_1) | instid1(VALU_DEP_3)
	v_sub_nc_u32_e32 v28, v28, v31
	v_add_nc_u32_e32 v31, 1, v29
	v_sub_nc_u32_e32 v27, v27, v32
	v_add_nc_u32_e32 v32, 1, v30
	s_delay_alu instid0(VALU_DEP_4) | instskip(NEXT) | instid1(VALU_DEP_3)
	v_cmp_le_u32_e64 s3, s11, v28
	v_subrev_nc_u32_e32 v33, s11, v27
	v_cmp_le_u32_e64 s4, s11, v27
	s_wait_alu 0xf1ff
	s_delay_alu instid0(VALU_DEP_3) | instskip(SKIP_1) | instid1(VALU_DEP_3)
	v_cndmask_b32_e64 v29, v29, v31, s3
	v_subrev_nc_u32_e32 v31, s11, v28
	v_cndmask_b32_e64 v30, v30, v32, s4
	v_cndmask_b32_e64 v27, v27, v33, s4
	s_delay_alu instid0(VALU_DEP_3) | instskip(SKIP_1) | instid1(VALU_DEP_4)
	v_cndmask_b32_e64 v28, v28, v31, s3
	v_add_nc_u32_e32 v31, 1, v29
	v_add_nc_u32_e32 v32, 1, v30
	s_delay_alu instid0(VALU_DEP_3) | instskip(SKIP_1) | instid1(VALU_DEP_1)
	v_cmp_le_u32_e64 s3, s11, v28
	s_wait_alu 0xf1ff
	v_cndmask_b32_e64 v28, v29, v31, s3
	v_cmp_le_u32_e64 s3, s11, v27
	s_delay_alu instid0(VALU_DEP_2) | instskip(SKIP_1) | instid1(VALU_DEP_2)
	v_xor_b32_e32 v28, v28, v26
	s_wait_alu 0xf1ff
	v_cndmask_b32_e64 v27, v30, v32, s3
	s_delay_alu instid0(VALU_DEP_2) | instskip(NEXT) | instid1(VALU_DEP_2)
	v_sub_nc_u32_e32 v26, v28, v26
	v_xor_b32_e32 v27, v27, v25
	s_delay_alu instid0(VALU_DEP_1) | instskip(NEXT) | instid1(VALU_DEP_1)
	v_sub_nc_u32_e32 v25, v27, v25
	v_perm_b32 v25, v25, v26, 0x5040100
	s_and_saveexec_b32 s3, s1
	s_cbranch_execz .LBB64_19
; %bb.18:                               ;   in Loop: Header=BB64_9 Depth=1
	v_add_co_u32 v26, s1, v5, s6
	s_wait_alu 0xf1ff
	v_add_co_ci_u32_e64 v27, null, s7, v6, s1
	global_store_b16 v[26:27], v25, off
.LBB64_19:                              ;   in Loop: Header=BB64_9 Depth=1
	s_wait_alu 0xfffe
	s_or_b32 exec_lo, exec_lo, s3
	s_and_saveexec_b32 s3, s2
	s_cbranch_execz .LBB64_21
; %bb.20:                               ;   in Loop: Header=BB64_9 Depth=1
	v_add_co_u32 v26, s1, v22, s6
	s_wait_alu 0xf1ff
	v_add_co_ci_u32_e64 v27, null, s7, v23, s1
	global_store_d16_hi_b16 v[26:27], v25, off
.LBB64_21:                              ;   in Loop: Header=BB64_9 Depth=1
	s_wait_alu 0xfffe
	s_or_b32 exec_lo, exec_lo, s3
	v_bfe_i32 v26, v24, 0, 16
	v_ashrrev_i32_e32 v27, 16, v24
	v_ashrrev_i32_e32 v24, 31, v24
	s_delay_alu instid0(VALU_DEP_3) | instskip(NEXT) | instid1(VALU_DEP_3)
	v_sub_nc_u32_e32 v28, 0, v26
	v_sub_nc_u32_e32 v29, 0, v27
	s_delay_alu instid0(VALU_DEP_3) | instskip(NEXT) | instid1(VALU_DEP_3)
	v_xor_b32_e32 v24, s20, v24
	v_max_i32_e32 v28, v26, v28
	s_delay_alu instid0(VALU_DEP_3) | instskip(SKIP_1) | instid1(VALU_DEP_3)
	v_max_i32_e32 v27, v27, v29
	v_ashrrev_i32_e32 v26, 31, v26
	v_mul_hi_u32 v29, v28, s21
	s_delay_alu instid0(VALU_DEP_3) | instskip(NEXT) | instid1(VALU_DEP_3)
	v_mul_hi_u32 v30, v27, s21
	v_xor_b32_e32 v26, s20, v26
	s_delay_alu instid0(VALU_DEP_3) | instskip(NEXT) | instid1(VALU_DEP_3)
	v_mul_lo_u32 v31, v29, s11
	v_mul_lo_u32 v32, v30, s11
	s_delay_alu instid0(VALU_DEP_2) | instskip(SKIP_1) | instid1(VALU_DEP_3)
	v_sub_nc_u32_e32 v28, v28, v31
	v_add_nc_u32_e32 v31, 1, v29
	v_sub_nc_u32_e32 v27, v27, v32
	v_add_nc_u32_e32 v32, 1, v30
	s_delay_alu instid0(VALU_DEP_4) | instskip(NEXT) | instid1(VALU_DEP_3)
	v_cmp_le_u32_e64 s1, s11, v28
	v_subrev_nc_u32_e32 v33, s11, v27
	v_cmp_le_u32_e64 s2, s11, v27
	s_wait_alu 0xf1ff
	s_delay_alu instid0(VALU_DEP_3) | instskip(SKIP_1) | instid1(VALU_DEP_3)
	v_cndmask_b32_e64 v29, v29, v31, s1
	v_subrev_nc_u32_e32 v31, s11, v28
	v_cndmask_b32_e64 v30, v30, v32, s2
	v_cndmask_b32_e64 v27, v27, v33, s2
	s_delay_alu instid0(VALU_DEP_3) | instskip(SKIP_1) | instid1(VALU_DEP_4)
	v_cndmask_b32_e64 v28, v28, v31, s1
	v_add_nc_u32_e32 v31, 1, v29
	v_add_nc_u32_e32 v32, 1, v30
	s_delay_alu instid0(VALU_DEP_3) | instskip(SKIP_1) | instid1(VALU_DEP_1)
	v_cmp_le_u32_e64 s1, s11, v28
	s_wait_alu 0xf1ff
	v_cndmask_b32_e64 v28, v29, v31, s1
	v_cmp_le_u32_e64 s1, s11, v27
	s_delay_alu instid0(VALU_DEP_2) | instskip(SKIP_1) | instid1(VALU_DEP_2)
	v_xor_b32_e32 v28, v28, v26
	s_wait_alu 0xf1ff
	v_cndmask_b32_e64 v27, v30, v32, s1
	s_delay_alu instid0(VALU_DEP_2) | instskip(NEXT) | instid1(VALU_DEP_2)
	v_sub_nc_u32_e32 v26, v28, v26
	v_xor_b32_e32 v27, v27, v24
	s_delay_alu instid0(VALU_DEP_1) | instskip(NEXT) | instid1(VALU_DEP_1)
	v_sub_nc_u32_e32 v24, v27, v24
	v_perm_b32 v24, v24, v26, 0x5040100
	s_and_saveexec_b32 s1, vcc_lo
	s_cbranch_execz .LBB64_23
; %bb.22:                               ;   in Loop: Header=BB64_9 Depth=1
	v_add_co_u32 v26, vcc_lo, v15, s6
	s_wait_alu 0xfffd
	v_add_co_ci_u32_e64 v27, null, s7, v16, vcc_lo
	global_store_b16 v[26:27], v24, off
.LBB64_23:                              ;   in Loop: Header=BB64_9 Depth=1
	s_wait_alu 0xfffe
	s_or_b32 exec_lo, exec_lo, s1
	s_and_saveexec_b32 s1, s0
	s_cbranch_execz .LBB64_8
; %bb.24:                               ;   in Loop: Header=BB64_9 Depth=1
	v_add_co_u32 v26, vcc_lo, v9, s6
	s_wait_alu 0xfffd
	v_add_co_ci_u32_e64 v27, null, s7, v10, vcc_lo
	global_store_d16_hi_b16 v[26:27], v24, off
	s_branch .LBB64_8
.LBB64_25:
	s_endpgm
	.section	.rodata,"a",@progbits
	.p2align	6, 0x0
	.amdhsa_kernel _ZN2at6native12_GLOBAL__N_125multi_tensor_apply_kernelINS1_18TensorListMetadataILi2EEENS1_27BinaryOpScalarTensorFunctorIsLi2ELi1ELi1EEEJSt7dividesIsEPssEEEvT_T0_DpT1_
		.amdhsa_group_segment_fixed_size 0
		.amdhsa_private_segment_fixed_size 0
		.amdhsa_kernarg_size 3424
		.amdhsa_user_sgpr_count 2
		.amdhsa_user_sgpr_dispatch_ptr 0
		.amdhsa_user_sgpr_queue_ptr 0
		.amdhsa_user_sgpr_kernarg_segment_ptr 1
		.amdhsa_user_sgpr_dispatch_id 0
		.amdhsa_user_sgpr_private_segment_size 0
		.amdhsa_wavefront_size32 1
		.amdhsa_uses_dynamic_stack 0
		.amdhsa_enable_private_segment 0
		.amdhsa_system_sgpr_workgroup_id_x 1
		.amdhsa_system_sgpr_workgroup_id_y 0
		.amdhsa_system_sgpr_workgroup_id_z 0
		.amdhsa_system_sgpr_workgroup_info 0
		.amdhsa_system_vgpr_workitem_id 0
		.amdhsa_next_free_vgpr 34
		.amdhsa_next_free_sgpr 24
		.amdhsa_reserve_vcc 1
		.amdhsa_float_round_mode_32 0
		.amdhsa_float_round_mode_16_64 0
		.amdhsa_float_denorm_mode_32 3
		.amdhsa_float_denorm_mode_16_64 3
		.amdhsa_fp16_overflow 0
		.amdhsa_workgroup_processor_mode 1
		.amdhsa_memory_ordered 1
		.amdhsa_forward_progress 1
		.amdhsa_inst_pref_size 22
		.amdhsa_round_robin_scheduling 0
		.amdhsa_exception_fp_ieee_invalid_op 0
		.amdhsa_exception_fp_denorm_src 0
		.amdhsa_exception_fp_ieee_div_zero 0
		.amdhsa_exception_fp_ieee_overflow 0
		.amdhsa_exception_fp_ieee_underflow 0
		.amdhsa_exception_fp_ieee_inexact 0
		.amdhsa_exception_int_div_zero 0
	.end_amdhsa_kernel
	.section	.text._ZN2at6native12_GLOBAL__N_125multi_tensor_apply_kernelINS1_18TensorListMetadataILi2EEENS1_27BinaryOpScalarTensorFunctorIsLi2ELi1ELi1EEEJSt7dividesIsEPssEEEvT_T0_DpT1_,"axG",@progbits,_ZN2at6native12_GLOBAL__N_125multi_tensor_apply_kernelINS1_18TensorListMetadataILi2EEENS1_27BinaryOpScalarTensorFunctorIsLi2ELi1ELi1EEEJSt7dividesIsEPssEEEvT_T0_DpT1_,comdat
.Lfunc_end64:
	.size	_ZN2at6native12_GLOBAL__N_125multi_tensor_apply_kernelINS1_18TensorListMetadataILi2EEENS1_27BinaryOpScalarTensorFunctorIsLi2ELi1ELi1EEEJSt7dividesIsEPssEEEvT_T0_DpT1_, .Lfunc_end64-_ZN2at6native12_GLOBAL__N_125multi_tensor_apply_kernelINS1_18TensorListMetadataILi2EEENS1_27BinaryOpScalarTensorFunctorIsLi2ELi1ELi1EEEJSt7dividesIsEPssEEEvT_T0_DpT1_
                                        ; -- End function
	.set _ZN2at6native12_GLOBAL__N_125multi_tensor_apply_kernelINS1_18TensorListMetadataILi2EEENS1_27BinaryOpScalarTensorFunctorIsLi2ELi1ELi1EEEJSt7dividesIsEPssEEEvT_T0_DpT1_.num_vgpr, 34
	.set _ZN2at6native12_GLOBAL__N_125multi_tensor_apply_kernelINS1_18TensorListMetadataILi2EEENS1_27BinaryOpScalarTensorFunctorIsLi2ELi1ELi1EEEJSt7dividesIsEPssEEEvT_T0_DpT1_.num_agpr, 0
	.set _ZN2at6native12_GLOBAL__N_125multi_tensor_apply_kernelINS1_18TensorListMetadataILi2EEENS1_27BinaryOpScalarTensorFunctorIsLi2ELi1ELi1EEEJSt7dividesIsEPssEEEvT_T0_DpT1_.numbered_sgpr, 24
	.set _ZN2at6native12_GLOBAL__N_125multi_tensor_apply_kernelINS1_18TensorListMetadataILi2EEENS1_27BinaryOpScalarTensorFunctorIsLi2ELi1ELi1EEEJSt7dividesIsEPssEEEvT_T0_DpT1_.num_named_barrier, 0
	.set _ZN2at6native12_GLOBAL__N_125multi_tensor_apply_kernelINS1_18TensorListMetadataILi2EEENS1_27BinaryOpScalarTensorFunctorIsLi2ELi1ELi1EEEJSt7dividesIsEPssEEEvT_T0_DpT1_.private_seg_size, 0
	.set _ZN2at6native12_GLOBAL__N_125multi_tensor_apply_kernelINS1_18TensorListMetadataILi2EEENS1_27BinaryOpScalarTensorFunctorIsLi2ELi1ELi1EEEJSt7dividesIsEPssEEEvT_T0_DpT1_.uses_vcc, 1
	.set _ZN2at6native12_GLOBAL__N_125multi_tensor_apply_kernelINS1_18TensorListMetadataILi2EEENS1_27BinaryOpScalarTensorFunctorIsLi2ELi1ELi1EEEJSt7dividesIsEPssEEEvT_T0_DpT1_.uses_flat_scratch, 0
	.set _ZN2at6native12_GLOBAL__N_125multi_tensor_apply_kernelINS1_18TensorListMetadataILi2EEENS1_27BinaryOpScalarTensorFunctorIsLi2ELi1ELi1EEEJSt7dividesIsEPssEEEvT_T0_DpT1_.has_dyn_sized_stack, 0
	.set _ZN2at6native12_GLOBAL__N_125multi_tensor_apply_kernelINS1_18TensorListMetadataILi2EEENS1_27BinaryOpScalarTensorFunctorIsLi2ELi1ELi1EEEJSt7dividesIsEPssEEEvT_T0_DpT1_.has_recursion, 0
	.set _ZN2at6native12_GLOBAL__N_125multi_tensor_apply_kernelINS1_18TensorListMetadataILi2EEENS1_27BinaryOpScalarTensorFunctorIsLi2ELi1ELi1EEEJSt7dividesIsEPssEEEvT_T0_DpT1_.has_indirect_call, 0
	.section	.AMDGPU.csdata,"",@progbits
; Kernel info:
; codeLenInByte = 2796
; TotalNumSgprs: 26
; NumVgprs: 34
; ScratchSize: 0
; MemoryBound: 0
; FloatMode: 240
; IeeeMode: 1
; LDSByteSize: 0 bytes/workgroup (compile time only)
; SGPRBlocks: 0
; VGPRBlocks: 4
; NumSGPRsForWavesPerEU: 26
; NumVGPRsForWavesPerEU: 34
; Occupancy: 16
; WaveLimiterHint : 0
; COMPUTE_PGM_RSRC2:SCRATCH_EN: 0
; COMPUTE_PGM_RSRC2:USER_SGPR: 2
; COMPUTE_PGM_RSRC2:TRAP_HANDLER: 0
; COMPUTE_PGM_RSRC2:TGID_X_EN: 1
; COMPUTE_PGM_RSRC2:TGID_Y_EN: 0
; COMPUTE_PGM_RSRC2:TGID_Z_EN: 0
; COMPUTE_PGM_RSRC2:TIDIG_COMP_CNT: 0
	.section	.text._ZN2at6native12_GLOBAL__N_125multi_tensor_apply_kernelINS1_18TensorListMetadataILi2EEENS1_27BinaryOpScalarTensorFunctorIdLi2ELi1ELi1EEEJSt7dividesIdEPddEEEvT_T0_DpT1_,"axG",@progbits,_ZN2at6native12_GLOBAL__N_125multi_tensor_apply_kernelINS1_18TensorListMetadataILi2EEENS1_27BinaryOpScalarTensorFunctorIdLi2ELi1ELi1EEEJSt7dividesIdEPddEEEvT_T0_DpT1_,comdat
	.globl	_ZN2at6native12_GLOBAL__N_125multi_tensor_apply_kernelINS1_18TensorListMetadataILi2EEENS1_27BinaryOpScalarTensorFunctorIdLi2ELi1ELi1EEEJSt7dividesIdEPddEEEvT_T0_DpT1_ ; -- Begin function _ZN2at6native12_GLOBAL__N_125multi_tensor_apply_kernelINS1_18TensorListMetadataILi2EEENS1_27BinaryOpScalarTensorFunctorIdLi2ELi1ELi1EEEJSt7dividesIdEPddEEEvT_T0_DpT1_
	.p2align	8
	.type	_ZN2at6native12_GLOBAL__N_125multi_tensor_apply_kernelINS1_18TensorListMetadataILi2EEENS1_27BinaryOpScalarTensorFunctorIdLi2ELi1ELi1EEEJSt7dividesIdEPddEEEvT_T0_DpT1_,@function
_ZN2at6native12_GLOBAL__N_125multi_tensor_apply_kernelINS1_18TensorListMetadataILi2EEENS1_27BinaryOpScalarTensorFunctorIdLi2ELi1ELi1EEEJSt7dividesIdEPddEEEvT_T0_DpT1_: ; @_ZN2at6native12_GLOBAL__N_125multi_tensor_apply_kernelINS1_18TensorListMetadataILi2EEENS1_27BinaryOpScalarTensorFunctorIdLi2ELi1ELi1EEEJSt7dividesIdEPddEEEvT_T0_DpT1_
; %bb.0:
	s_mov_b32 s2, ttmp9
	s_mov_b32 s3, 0
	s_delay_alu instid0(SALU_CYCLE_1)
	s_mul_u64 s[4:5], s[2:3], 3
	s_add_nc_u64 s[6:7], s[0:1], s[2:3]
	s_mov_b32 s19, s3
	s_add_nc_u64 s[4:5], s[6:7], s[4:5]
	s_clause 0x1
	s_load_b32 s4, s[4:5], 0x740
	s_load_u8 s2, s[0:1], ttmp9 offset:0x600
	s_mov_b32 s21, s3
	s_wait_kmcnt 0x0
	s_ashr_i32 s5, s4, 31
	s_lshl_b32 s2, s2, 3
	s_clause 0x3
	s_load_b64 s[14:15], s[0:1], s2 offset:0x0
	s_load_b64 s[16:17], s[0:1], s2 offset:0x200
	;; [unrolled: 1-line block ×3, first 2 shown]
	s_load_b128 s[8:11], s[0:1], 0xc50
	s_lshl_b64 s[6:7], s[4:5], 19
	s_lshl_b64 s[4:5], s[4:5], 16
	s_wait_kmcnt 0x0
	s_add_nc_u64 s[22:23], s[14:15], s[6:7]
	s_and_b32 s18, s16, 31
	s_and_b32 s20, s12, 3
	;; [unrolled: 1-line block ×3, first 2 shown]
	s_or_b64 s[18:19], s[18:19], s[20:21]
	s_delay_alu instid0(SALU_CYCLE_1)
	s_or_b64 s[2:3], s[18:19], s[2:3]
	s_sub_nc_u64 s[18:19], s[12:13], s[4:5]
	s_cmp_eq_u64 s[2:3], 0
	s_mov_b32 s2, -1
	s_cbranch_scc0 .LBB65_5
; %bb.1:
	v_cmp_gt_i64_e64 s2, 0x10000, s[18:19]
	v_dual_mov_b32 v2, 0 :: v_dual_lshlrev_b32 v1, 2, v0
	s_mov_b32 s5, exec_lo
	s_and_b32 s2, s2, exec_lo
	s_cselect_b32 s13, s19, 0
	s_cselect_b32 s12, s18, 0x10000
	s_delay_alu instid0(SALU_CYCLE_1)
	v_cmpx_gt_i64_e64 s[12:13], v[1:2]
	s_cbranch_execz .LBB65_4
; %bb.2:
	s_load_b32 s2, s[0:1], 0xc6c
	v_lshlrev_b32_e32 v3, 5, v0
	v_mov_b32_e32 v1, v2
	s_mov_b32 s21, 0
	s_delay_alu instid0(VALU_DEP_2) | instskip(NEXT) | instid1(VALU_DEP_1)
	v_add_co_u32 v5, s3, s6, v3
	v_add_co_ci_u32_e64 v6, null, s7, 0, s3
	s_delay_alu instid0(VALU_DEP_3) | instskip(SKIP_2) | instid1(SALU_CYCLE_1)
	v_dual_mov_b32 v4, v1 :: v_dual_mov_b32 v3, v0
	s_wait_kmcnt 0x0
	s_and_b32 s20, s2, 0xffff
	s_lshl_b32 s22, s20, 5
.LBB65_3:                               ; =>This Inner Loop Header: Depth=1
	global_load_b64 v[15:16], v2, s[8:9]
	v_add_co_u32 v11, vcc_lo, s14, v5
	s_wait_alu 0xfffd
	v_add_co_ci_u32_e64 v12, null, s15, v6, vcc_lo
	s_clause 0x1
	global_load_b128 v[7:10], v[11:12], off
	global_load_b128 v[11:14], v[11:12], off offset:16
	s_wait_loadcnt 0x2
	v_mul_f64_e32 v[15:16], s[10:11], v[15:16]
	s_wait_loadcnt 0x1
	s_delay_alu instid0(VALU_DEP_1)
	v_div_scale_f64 v[17:18], null, v[15:16], v[15:16], v[7:8]
	v_div_scale_f64 v[19:20], null, v[15:16], v[15:16], v[9:10]
	s_wait_loadcnt 0x0
	v_div_scale_f64 v[21:22], null, v[15:16], v[15:16], v[11:12]
	v_div_scale_f64 v[23:24], null, v[15:16], v[15:16], v[13:14]
	v_div_scale_f64 v[41:42], vcc_lo, v[7:8], v[15:16], v[7:8]
	v_div_scale_f64 v[43:44], s2, v[9:10], v[15:16], v[9:10]
	v_div_scale_f64 v[45:46], s3, v[11:12], v[15:16], v[11:12]
	v_rcp_f64_e32 v[25:26], v[17:18]
	v_rcp_f64_e32 v[27:28], v[19:20]
	;; [unrolled: 1-line block ×3, first 2 shown]
	s_delay_alu instid0(VALU_DEP_4) | instskip(SKIP_1) | instid1(TRANS32_DEP_3)
	v_rcp_f64_e32 v[31:32], v[23:24]
	v_fma_f64 v[33:34], -v[17:18], v[25:26], 1.0
	v_fma_f64 v[35:36], -v[19:20], v[27:28], 1.0
	s_delay_alu instid0(TRANS32_DEP_2) | instskip(NEXT) | instid1(TRANS32_DEP_1)
	v_fma_f64 v[37:38], -v[21:22], v[29:30], 1.0
	v_fma_f64 v[39:40], -v[23:24], v[31:32], 1.0
	s_delay_alu instid0(VALU_DEP_4) | instskip(NEXT) | instid1(VALU_DEP_4)
	v_fma_f64 v[25:26], v[25:26], v[33:34], v[25:26]
	v_fma_f64 v[27:28], v[27:28], v[35:36], v[27:28]
	s_delay_alu instid0(VALU_DEP_4) | instskip(NEXT) | instid1(VALU_DEP_4)
	v_fma_f64 v[29:30], v[29:30], v[37:38], v[29:30]
	v_fma_f64 v[31:32], v[31:32], v[39:40], v[31:32]
	s_delay_alu instid0(VALU_DEP_4) | instskip(NEXT) | instid1(VALU_DEP_4)
	v_fma_f64 v[33:34], -v[17:18], v[25:26], 1.0
	v_fma_f64 v[35:36], -v[19:20], v[27:28], 1.0
	s_delay_alu instid0(VALU_DEP_4) | instskip(NEXT) | instid1(VALU_DEP_4)
	v_fma_f64 v[37:38], -v[21:22], v[29:30], 1.0
	v_fma_f64 v[39:40], -v[23:24], v[31:32], 1.0
	s_delay_alu instid0(VALU_DEP_4)
	v_fma_f64 v[25:26], v[25:26], v[33:34], v[25:26]
	v_div_scale_f64 v[33:34], s4, v[13:14], v[15:16], v[13:14]
	v_fma_f64 v[27:28], v[27:28], v[35:36], v[27:28]
	v_fma_f64 v[29:30], v[29:30], v[37:38], v[29:30]
	;; [unrolled: 1-line block ×3, first 2 shown]
	v_mul_f64_e32 v[35:36], v[41:42], v[25:26]
	s_delay_alu instid0(VALU_DEP_4) | instskip(NEXT) | instid1(VALU_DEP_4)
	v_mul_f64_e32 v[37:38], v[43:44], v[27:28]
	v_mul_f64_e32 v[39:40], v[45:46], v[29:30]
	s_delay_alu instid0(VALU_DEP_4) | instskip(NEXT) | instid1(VALU_DEP_4)
	v_mul_f64_e32 v[47:48], v[33:34], v[31:32]
	v_fma_f64 v[17:18], -v[17:18], v[35:36], v[41:42]
	s_delay_alu instid0(VALU_DEP_4) | instskip(NEXT) | instid1(VALU_DEP_4)
	v_fma_f64 v[19:20], -v[19:20], v[37:38], v[43:44]
	v_fma_f64 v[21:22], -v[21:22], v[39:40], v[45:46]
	s_delay_alu instid0(VALU_DEP_4) | instskip(SKIP_1) | instid1(VALU_DEP_4)
	v_fma_f64 v[23:24], -v[23:24], v[47:48], v[33:34]
	s_wait_alu 0xfffd
	v_div_fmas_f64 v[17:18], v[17:18], v[25:26], v[35:36]
	s_mov_b32 vcc_lo, s2
	s_wait_alu 0xfffe
	s_delay_alu instid0(VALU_DEP_4) | instskip(SKIP_2) | instid1(VALU_DEP_4)
	v_div_fmas_f64 v[19:20], v[19:20], v[27:28], v[37:38]
	s_mov_b32 vcc_lo, s3
	s_wait_alu 0xfffe
	v_div_fmas_f64 v[21:22], v[21:22], v[29:30], v[39:40]
	s_mov_b32 vcc_lo, s4
	s_wait_alu 0xfffe
	s_delay_alu instid0(VALU_DEP_4)
	v_div_fmas_f64 v[23:24], v[23:24], v[31:32], v[47:48]
	v_add_co_u32 v3, vcc_lo, v3, s20
	s_wait_alu 0xfffd
	v_add_co_ci_u32_e64 v4, null, 0, v4, vcc_lo
	v_div_fixup_f64 v[7:8], v[17:18], v[15:16], v[7:8]
	v_add_co_u32 v17, vcc_lo, s16, v5
	v_div_fixup_f64 v[9:10], v[19:20], v[15:16], v[9:10]
	s_wait_alu 0xfffd
	v_add_co_ci_u32_e64 v18, null, s17, v6, vcc_lo
	v_div_fixup_f64 v[11:12], v[21:22], v[15:16], v[11:12]
	v_add_co_u32 v5, s2, v5, s22
	v_div_fixup_f64 v[13:14], v[23:24], v[15:16], v[13:14]
	v_lshlrev_b64_e32 v[15:16], 2, v[3:4]
	s_wait_alu 0xf1ff
	v_add_co_ci_u32_e64 v6, null, 0, v6, s2
	s_clause 0x1
	global_store_b128 v[17:18], v[7:10], off
	global_store_b128 v[17:18], v[11:14], off offset:16
	v_cmp_le_i64_e32 vcc_lo, s[12:13], v[15:16]
	s_or_b32 s21, vcc_lo, s21
	s_wait_alu 0xfffe
	s_and_not1_b32 exec_lo, exec_lo, s21
	s_cbranch_execnz .LBB65_3
.LBB65_4:
	s_or_b32 exec_lo, exec_lo, s5
	s_mov_b32 s2, 0
.LBB65_5:
	s_wait_alu 0xfffe
	s_and_not1_b32 vcc_lo, exec_lo, s2
	s_wait_alu 0xfffe
	s_cbranch_vccnz .LBB65_25
; %bb.6:
	v_cmp_lt_i64_e64 s2, s[18:19], 1
	s_and_b32 vcc_lo, exec_lo, s2
	s_wait_alu 0xfffe
	s_cbranch_vccnz .LBB65_25
; %bb.7:
	s_load_b32 s0, s[0:1], 0xc6c
	v_cmp_gt_i64_e64 s1, 0x10000, s[18:19]
	v_dual_mov_b32 v2, 0 :: v_dual_lshlrev_b32 v1, 3, v0
	v_cmp_gt_u64_e64 s2, 0x10000, s[18:19]
	s_mov_b32 s5, 0
	s_and_b32 s1, s1, exec_lo
	s_cselect_b32 s13, s19, 0
	s_cselect_b32 s12, s18, 0x10000
	v_add_co_u32 v15, s1, s16, v1
	v_add_co_u32 v13, s3, s14, v1
	v_add_co_ci_u32_e64 v16, null, s17, 0, s1
	s_wait_alu 0xf1ff
	v_add_co_ci_u32_e64 v14, null, s15, 0, s3
	s_wait_kmcnt 0x0
	s_and_b32 s0, s0, 0xffff
	s_and_b32 s1, s2, exec_lo
	s_wait_alu 0xfffe
	v_mad_co_u64_u32 v[3:4], null, s0, 24, v[1:2]
	s_cselect_b32 s19, s19, 0
	s_cselect_b32 s18, s18, 0x10000
	s_mul_i32 s2, s0, 3
	s_lshl_b32 s3, s0, 4
	s_lshl_b32 s1, s0, 1
	s_lshl_b32 s4, s0, 2
	v_add_co_u32 v17, vcc_lo, s14, v3
	s_wait_alu 0xfffd
	v_add_co_ci_u32_e64 v18, null, s15, v4, vcc_lo
	v_add_co_u32 v19, vcc_lo, s16, v3
	s_wait_alu 0xfffe
	v_add_co_u32 v3, s3, s3, v1
	v_add_co_u32 v1, s2, s2, v0
	s_wait_alu 0xfffd
	v_add_co_ci_u32_e64 v20, null, s17, v4, vcc_lo
	s_wait_alu 0xf1ff
	v_add_co_ci_u32_e64 v4, null, 0, 0, s3
	v_add_co_ci_u32_e64 v21, null, 0, 0, s2
	v_add_co_u32 v24, s2, v0, s0
	v_add_co_u32 v22, vcc_lo, s14, v3
	s_wait_alu 0xfffd
	v_add_co_ci_u32_e64 v23, null, s15, v4, vcc_lo
	v_add_co_u32 v25, vcc_lo, s16, v3
	v_lshlrev_b32_e32 v3, 3, v24
	v_add_co_u32 v28, s1, s1, v0
	s_wait_alu 0xf1ff
	v_add_co_ci_u32_e64 v29, null, 0, 0, s1
	s_delay_alu instid0(VALU_DEP_3)
	v_add_co_u32 v30, s1, s14, v3
	s_wait_alu 0xf1ff
	v_add_co_ci_u32_e64 v31, null, s15, 0, s1
	v_add_co_u32 v32, s1, s16, v3
	s_wait_alu 0xfffd
	v_add_co_ci_u32_e64 v26, null, s17, v4, vcc_lo
	v_add_co_ci_u32_e64 v27, null, 0, 0, s2
	s_wait_alu 0xf1ff
	v_add_co_ci_u32_e64 v33, null, s17, 0, s1
	s_lshl_b32 s16, s0, 5
	s_mov_b64 s[14:15], 0
	s_branch .LBB65_9
.LBB65_8:                               ;   in Loop: Header=BB65_9 Depth=1
	s_wait_alu 0xfffe
	s_or_b32 exec_lo, exec_lo, s1
	v_add_co_u32 v13, vcc_lo, v13, s16
	s_wait_alu 0xfffd
	v_add_co_ci_u32_e64 v14, null, 0, v14, vcc_lo
	v_add_co_u32 v15, vcc_lo, v15, s16
	s_wait_alu 0xfffd
	v_add_co_ci_u32_e64 v16, null, 0, v16, vcc_lo
	;; [unrolled: 3-line block ×5, first 2 shown]
	v_add_co_u32 v25, vcc_lo, v25, s16
	s_add_nc_u64 s[14:15], s[14:15], s[4:5]
	s_wait_alu 0xfffd
	v_add_co_ci_u32_e64 v26, null, 0, v26, vcc_lo
	v_add_co_u32 v30, vcc_lo, v30, s16
	s_wait_alu 0xfffe
	v_cmp_ge_i64_e64 s0, s[14:15], s[12:13]
	s_wait_alu 0xfffd
	v_add_co_ci_u32_e64 v31, null, 0, v31, vcc_lo
	v_add_co_u32 v32, vcc_lo, v32, s16
	s_wait_alu 0xfffd
	v_add_co_ci_u32_e64 v33, null, 0, v33, vcc_lo
	s_and_b32 vcc_lo, exec_lo, s0
	s_wait_alu 0xfffe
	s_cbranch_vccnz .LBB65_25
.LBB65_9:                               ; =>This Inner Loop Header: Depth=1
	s_wait_alu 0xfffe
	v_add_co_u32 v3, s0, v0, s14
	s_wait_alu 0xf1ff
	v_add_co_ci_u32_e64 v4, null, 0, s15, s0
	v_mov_b32_e32 v5, 0
	v_dual_mov_b32 v6, 0 :: v_dual_mov_b32 v9, 0
	s_delay_alu instid0(VALU_DEP_3)
	v_cmp_gt_u64_e32 vcc_lo, s[18:19], v[3:4]
	v_mov_b32_e32 v10, 0
	s_and_saveexec_b32 s1, vcc_lo
	s_cbranch_execz .LBB65_11
; %bb.10:                               ;   in Loop: Header=BB65_9 Depth=1
	v_add_co_u32 v3, s0, v13, s6
	s_wait_alu 0xf1ff
	v_add_co_ci_u32_e64 v4, null, s7, v14, s0
	global_load_b64 v[9:10], v[3:4], off
.LBB65_11:                              ;   in Loop: Header=BB65_9 Depth=1
	s_wait_alu 0xfffe
	s_or_b32 exec_lo, exec_lo, s1
	v_add_co_u32 v3, s0, v24, s14
	s_wait_alu 0xf1ff
	v_add_co_ci_u32_e64 v4, null, s15, v27, s0
	s_delay_alu instid0(VALU_DEP_1)
	v_cmp_gt_u64_e64 s2, s[18:19], v[3:4]
	s_and_saveexec_b32 s1, s2
	s_cbranch_execz .LBB65_13
; %bb.12:                               ;   in Loop: Header=BB65_9 Depth=1
	v_add_co_u32 v3, s0, v30, s6
	s_wait_alu 0xf1ff
	v_add_co_ci_u32_e64 v4, null, s7, v31, s0
	global_load_b64 v[5:6], v[3:4], off
.LBB65_13:                              ;   in Loop: Header=BB65_9 Depth=1
	s_wait_alu 0xfffe
	s_or_b32 exec_lo, exec_lo, s1
	v_add_co_u32 v7, s0, v28, s14
	s_wait_alu 0xf1ff
	v_add_co_ci_u32_e64 v8, null, s15, v29, s0
	v_mov_b32_e32 v3, 0
	v_mov_b32_e32 v4, 0
	s_delay_alu instid0(VALU_DEP_3)
	v_cmp_gt_u64_e64 s1, s[18:19], v[7:8]
	v_mov_b32_e32 v7, 0
	v_mov_b32_e32 v8, 0
	s_and_saveexec_b32 s3, s1
	s_cbranch_execz .LBB65_15
; %bb.14:                               ;   in Loop: Header=BB65_9 Depth=1
	v_add_co_u32 v7, s0, v22, s6
	s_wait_alu 0xf1ff
	v_add_co_ci_u32_e64 v8, null, s7, v23, s0
	global_load_b64 v[7:8], v[7:8], off
.LBB65_15:                              ;   in Loop: Header=BB65_9 Depth=1
	s_wait_alu 0xfffe
	s_or_b32 exec_lo, exec_lo, s3
	v_add_co_u32 v11, s0, v1, s14
	s_wait_alu 0xf1ff
	v_add_co_ci_u32_e64 v12, null, s15, v21, s0
	s_delay_alu instid0(VALU_DEP_1)
	v_cmp_gt_u64_e64 s0, s[18:19], v[11:12]
	s_and_saveexec_b32 s17, s0
	s_cbranch_execz .LBB65_17
; %bb.16:                               ;   in Loop: Header=BB65_9 Depth=1
	v_add_co_u32 v3, s3, v17, s6
	s_wait_alu 0xf1ff
	v_add_co_ci_u32_e64 v4, null, s7, v18, s3
	global_load_b64 v[3:4], v[3:4], off
.LBB65_17:                              ;   in Loop: Header=BB65_9 Depth=1
	s_wait_alu 0xfffe
	s_or_b32 exec_lo, exec_lo, s17
	global_load_b64 v[11:12], v2, s[8:9]
	s_wait_loadcnt 0x0
	v_mul_f64_e32 v[11:12], s[10:11], v[11:12]
	s_and_saveexec_b32 s3, vcc_lo
	s_cbranch_execnz .LBB65_21
; %bb.18:                               ;   in Loop: Header=BB65_9 Depth=1
	s_wait_alu 0xfffe
	s_or_b32 exec_lo, exec_lo, s3
	s_and_saveexec_b32 s3, s2
	s_cbranch_execnz .LBB65_22
.LBB65_19:                              ;   in Loop: Header=BB65_9 Depth=1
	s_wait_alu 0xfffe
	s_or_b32 exec_lo, exec_lo, s3
	s_and_saveexec_b32 s2, s1
	s_cbranch_execnz .LBB65_23
.LBB65_20:                              ;   in Loop: Header=BB65_9 Depth=1
	s_wait_alu 0xfffe
	s_or_b32 exec_lo, exec_lo, s2
	s_and_saveexec_b32 s1, s0
	s_cbranch_execz .LBB65_8
	s_branch .LBB65_24
.LBB65_21:                              ;   in Loop: Header=BB65_9 Depth=1
	s_delay_alu instid0(VALU_DEP_1) | instskip(NEXT) | instid1(VALU_DEP_1)
	v_div_scale_f64 v[34:35], null, v[11:12], v[11:12], v[9:10]
	v_rcp_f64_e32 v[36:37], v[34:35]
	s_delay_alu instid0(TRANS32_DEP_1) | instskip(NEXT) | instid1(VALU_DEP_1)
	v_fma_f64 v[38:39], -v[34:35], v[36:37], 1.0
	v_fma_f64 v[36:37], v[36:37], v[38:39], v[36:37]
	s_delay_alu instid0(VALU_DEP_1) | instskip(NEXT) | instid1(VALU_DEP_1)
	v_fma_f64 v[38:39], -v[34:35], v[36:37], 1.0
	v_fma_f64 v[36:37], v[36:37], v[38:39], v[36:37]
	v_div_scale_f64 v[38:39], vcc_lo, v[9:10], v[11:12], v[9:10]
	s_delay_alu instid0(VALU_DEP_1) | instskip(NEXT) | instid1(VALU_DEP_1)
	v_mul_f64_e32 v[40:41], v[38:39], v[36:37]
	v_fma_f64 v[34:35], -v[34:35], v[40:41], v[38:39]
	s_wait_alu 0xfffd
	s_delay_alu instid0(VALU_DEP_1) | instskip(NEXT) | instid1(VALU_DEP_1)
	v_div_fmas_f64 v[34:35], v[34:35], v[36:37], v[40:41]
	v_div_fixup_f64 v[9:10], v[34:35], v[11:12], v[9:10]
	v_add_co_u32 v34, vcc_lo, v15, s6
	s_wait_alu 0xfffd
	v_add_co_ci_u32_e64 v35, null, s7, v16, vcc_lo
	global_store_b64 v[34:35], v[9:10], off
	s_wait_alu 0xfffe
	s_or_b32 exec_lo, exec_lo, s3
	s_and_saveexec_b32 s3, s2
	s_cbranch_execz .LBB65_19
.LBB65_22:                              ;   in Loop: Header=BB65_9 Depth=1
	s_delay_alu instid0(VALU_DEP_1) | instskip(NEXT) | instid1(VALU_DEP_1)
	v_div_scale_f64 v[9:10], null, v[11:12], v[11:12], v[5:6]
	v_rcp_f64_e32 v[34:35], v[9:10]
	s_delay_alu instid0(TRANS32_DEP_1) | instskip(NEXT) | instid1(VALU_DEP_1)
	v_fma_f64 v[36:37], -v[9:10], v[34:35], 1.0
	v_fma_f64 v[34:35], v[34:35], v[36:37], v[34:35]
	s_delay_alu instid0(VALU_DEP_1) | instskip(NEXT) | instid1(VALU_DEP_1)
	v_fma_f64 v[36:37], -v[9:10], v[34:35], 1.0
	v_fma_f64 v[34:35], v[34:35], v[36:37], v[34:35]
	v_div_scale_f64 v[36:37], vcc_lo, v[5:6], v[11:12], v[5:6]
	s_delay_alu instid0(VALU_DEP_1) | instskip(NEXT) | instid1(VALU_DEP_1)
	v_mul_f64_e32 v[38:39], v[36:37], v[34:35]
	v_fma_f64 v[9:10], -v[9:10], v[38:39], v[36:37]
	s_wait_alu 0xfffd
	s_delay_alu instid0(VALU_DEP_1) | instskip(NEXT) | instid1(VALU_DEP_1)
	v_div_fmas_f64 v[9:10], v[9:10], v[34:35], v[38:39]
	v_div_fixup_f64 v[5:6], v[9:10], v[11:12], v[5:6]
	v_add_co_u32 v9, vcc_lo, v32, s6
	s_wait_alu 0xfffd
	v_add_co_ci_u32_e64 v10, null, s7, v33, vcc_lo
	global_store_b64 v[9:10], v[5:6], off
	s_wait_alu 0xfffe
	s_or_b32 exec_lo, exec_lo, s3
	s_and_saveexec_b32 s2, s1
	s_cbranch_execz .LBB65_20
.LBB65_23:                              ;   in Loop: Header=BB65_9 Depth=1
	s_delay_alu instid0(VALU_DEP_1) | instskip(NEXT) | instid1(VALU_DEP_1)
	v_div_scale_f64 v[5:6], null, v[11:12], v[11:12], v[7:8]
	v_rcp_f64_e32 v[9:10], v[5:6]
	s_delay_alu instid0(TRANS32_DEP_1) | instskip(NEXT) | instid1(VALU_DEP_1)
	v_fma_f64 v[34:35], -v[5:6], v[9:10], 1.0
	v_fma_f64 v[9:10], v[9:10], v[34:35], v[9:10]
	s_delay_alu instid0(VALU_DEP_1) | instskip(NEXT) | instid1(VALU_DEP_1)
	v_fma_f64 v[34:35], -v[5:6], v[9:10], 1.0
	v_fma_f64 v[9:10], v[9:10], v[34:35], v[9:10]
	v_div_scale_f64 v[34:35], vcc_lo, v[7:8], v[11:12], v[7:8]
	s_delay_alu instid0(VALU_DEP_1) | instskip(NEXT) | instid1(VALU_DEP_1)
	v_mul_f64_e32 v[36:37], v[34:35], v[9:10]
	v_fma_f64 v[5:6], -v[5:6], v[36:37], v[34:35]
	s_wait_alu 0xfffd
	s_delay_alu instid0(VALU_DEP_1) | instskip(NEXT) | instid1(VALU_DEP_1)
	v_div_fmas_f64 v[5:6], v[5:6], v[9:10], v[36:37]
	v_div_fixup_f64 v[5:6], v[5:6], v[11:12], v[7:8]
	v_add_co_u32 v7, vcc_lo, v25, s6
	s_wait_alu 0xfffd
	v_add_co_ci_u32_e64 v8, null, s7, v26, vcc_lo
	global_store_b64 v[7:8], v[5:6], off
	s_wait_alu 0xfffe
	s_or_b32 exec_lo, exec_lo, s2
	s_and_saveexec_b32 s1, s0
	s_cbranch_execz .LBB65_8
.LBB65_24:                              ;   in Loop: Header=BB65_9 Depth=1
	s_delay_alu instid0(VALU_DEP_1) | instskip(NEXT) | instid1(VALU_DEP_1)
	v_div_scale_f64 v[5:6], null, v[11:12], v[11:12], v[3:4]
	v_rcp_f64_e32 v[7:8], v[5:6]
	s_delay_alu instid0(TRANS32_DEP_1) | instskip(NEXT) | instid1(VALU_DEP_1)
	v_fma_f64 v[9:10], -v[5:6], v[7:8], 1.0
	v_fma_f64 v[7:8], v[7:8], v[9:10], v[7:8]
	s_delay_alu instid0(VALU_DEP_1) | instskip(NEXT) | instid1(VALU_DEP_1)
	v_fma_f64 v[9:10], -v[5:6], v[7:8], 1.0
	v_fma_f64 v[7:8], v[7:8], v[9:10], v[7:8]
	v_div_scale_f64 v[9:10], vcc_lo, v[3:4], v[11:12], v[3:4]
	s_delay_alu instid0(VALU_DEP_1) | instskip(NEXT) | instid1(VALU_DEP_1)
	v_mul_f64_e32 v[34:35], v[9:10], v[7:8]
	v_fma_f64 v[5:6], -v[5:6], v[34:35], v[9:10]
	s_wait_alu 0xfffd
	s_delay_alu instid0(VALU_DEP_1) | instskip(NEXT) | instid1(VALU_DEP_1)
	v_div_fmas_f64 v[5:6], v[5:6], v[7:8], v[34:35]
	v_div_fixup_f64 v[3:4], v[5:6], v[11:12], v[3:4]
	v_add_co_u32 v5, vcc_lo, v19, s6
	s_wait_alu 0xfffd
	v_add_co_ci_u32_e64 v6, null, s7, v20, vcc_lo
	global_store_b64 v[5:6], v[3:4], off
	s_branch .LBB65_8
.LBB65_25:
	s_endpgm
	.section	.rodata,"a",@progbits
	.p2align	6, 0x0
	.amdhsa_kernel _ZN2at6native12_GLOBAL__N_125multi_tensor_apply_kernelINS1_18TensorListMetadataILi2EEENS1_27BinaryOpScalarTensorFunctorIdLi2ELi1ELi1EEEJSt7dividesIdEPddEEEvT_T0_DpT1_
		.amdhsa_group_segment_fixed_size 0
		.amdhsa_private_segment_fixed_size 0
		.amdhsa_kernarg_size 3424
		.amdhsa_user_sgpr_count 2
		.amdhsa_user_sgpr_dispatch_ptr 0
		.amdhsa_user_sgpr_queue_ptr 0
		.amdhsa_user_sgpr_kernarg_segment_ptr 1
		.amdhsa_user_sgpr_dispatch_id 0
		.amdhsa_user_sgpr_private_segment_size 0
		.amdhsa_wavefront_size32 1
		.amdhsa_uses_dynamic_stack 0
		.amdhsa_enable_private_segment 0
		.amdhsa_system_sgpr_workgroup_id_x 1
		.amdhsa_system_sgpr_workgroup_id_y 0
		.amdhsa_system_sgpr_workgroup_id_z 0
		.amdhsa_system_sgpr_workgroup_info 0
		.amdhsa_system_vgpr_workitem_id 0
		.amdhsa_next_free_vgpr 49
		.amdhsa_next_free_sgpr 24
		.amdhsa_reserve_vcc 1
		.amdhsa_float_round_mode_32 0
		.amdhsa_float_round_mode_16_64 0
		.amdhsa_float_denorm_mode_32 3
		.amdhsa_float_denorm_mode_16_64 3
		.amdhsa_fp16_overflow 0
		.amdhsa_workgroup_processor_mode 1
		.amdhsa_memory_ordered 1
		.amdhsa_forward_progress 1
		.amdhsa_inst_pref_size 20
		.amdhsa_round_robin_scheduling 0
		.amdhsa_exception_fp_ieee_invalid_op 0
		.amdhsa_exception_fp_denorm_src 0
		.amdhsa_exception_fp_ieee_div_zero 0
		.amdhsa_exception_fp_ieee_overflow 0
		.amdhsa_exception_fp_ieee_underflow 0
		.amdhsa_exception_fp_ieee_inexact 0
		.amdhsa_exception_int_div_zero 0
	.end_amdhsa_kernel
	.section	.text._ZN2at6native12_GLOBAL__N_125multi_tensor_apply_kernelINS1_18TensorListMetadataILi2EEENS1_27BinaryOpScalarTensorFunctorIdLi2ELi1ELi1EEEJSt7dividesIdEPddEEEvT_T0_DpT1_,"axG",@progbits,_ZN2at6native12_GLOBAL__N_125multi_tensor_apply_kernelINS1_18TensorListMetadataILi2EEENS1_27BinaryOpScalarTensorFunctorIdLi2ELi1ELi1EEEJSt7dividesIdEPddEEEvT_T0_DpT1_,comdat
.Lfunc_end65:
	.size	_ZN2at6native12_GLOBAL__N_125multi_tensor_apply_kernelINS1_18TensorListMetadataILi2EEENS1_27BinaryOpScalarTensorFunctorIdLi2ELi1ELi1EEEJSt7dividesIdEPddEEEvT_T0_DpT1_, .Lfunc_end65-_ZN2at6native12_GLOBAL__N_125multi_tensor_apply_kernelINS1_18TensorListMetadataILi2EEENS1_27BinaryOpScalarTensorFunctorIdLi2ELi1ELi1EEEJSt7dividesIdEPddEEEvT_T0_DpT1_
                                        ; -- End function
	.set _ZN2at6native12_GLOBAL__N_125multi_tensor_apply_kernelINS1_18TensorListMetadataILi2EEENS1_27BinaryOpScalarTensorFunctorIdLi2ELi1ELi1EEEJSt7dividesIdEPddEEEvT_T0_DpT1_.num_vgpr, 49
	.set _ZN2at6native12_GLOBAL__N_125multi_tensor_apply_kernelINS1_18TensorListMetadataILi2EEENS1_27BinaryOpScalarTensorFunctorIdLi2ELi1ELi1EEEJSt7dividesIdEPddEEEvT_T0_DpT1_.num_agpr, 0
	.set _ZN2at6native12_GLOBAL__N_125multi_tensor_apply_kernelINS1_18TensorListMetadataILi2EEENS1_27BinaryOpScalarTensorFunctorIdLi2ELi1ELi1EEEJSt7dividesIdEPddEEEvT_T0_DpT1_.numbered_sgpr, 24
	.set _ZN2at6native12_GLOBAL__N_125multi_tensor_apply_kernelINS1_18TensorListMetadataILi2EEENS1_27BinaryOpScalarTensorFunctorIdLi2ELi1ELi1EEEJSt7dividesIdEPddEEEvT_T0_DpT1_.num_named_barrier, 0
	.set _ZN2at6native12_GLOBAL__N_125multi_tensor_apply_kernelINS1_18TensorListMetadataILi2EEENS1_27BinaryOpScalarTensorFunctorIdLi2ELi1ELi1EEEJSt7dividesIdEPddEEEvT_T0_DpT1_.private_seg_size, 0
	.set _ZN2at6native12_GLOBAL__N_125multi_tensor_apply_kernelINS1_18TensorListMetadataILi2EEENS1_27BinaryOpScalarTensorFunctorIdLi2ELi1ELi1EEEJSt7dividesIdEPddEEEvT_T0_DpT1_.uses_vcc, 1
	.set _ZN2at6native12_GLOBAL__N_125multi_tensor_apply_kernelINS1_18TensorListMetadataILi2EEENS1_27BinaryOpScalarTensorFunctorIdLi2ELi1ELi1EEEJSt7dividesIdEPddEEEvT_T0_DpT1_.uses_flat_scratch, 0
	.set _ZN2at6native12_GLOBAL__N_125multi_tensor_apply_kernelINS1_18TensorListMetadataILi2EEENS1_27BinaryOpScalarTensorFunctorIdLi2ELi1ELi1EEEJSt7dividesIdEPddEEEvT_T0_DpT1_.has_dyn_sized_stack, 0
	.set _ZN2at6native12_GLOBAL__N_125multi_tensor_apply_kernelINS1_18TensorListMetadataILi2EEENS1_27BinaryOpScalarTensorFunctorIdLi2ELi1ELi1EEEJSt7dividesIdEPddEEEvT_T0_DpT1_.has_recursion, 0
	.set _ZN2at6native12_GLOBAL__N_125multi_tensor_apply_kernelINS1_18TensorListMetadataILi2EEENS1_27BinaryOpScalarTensorFunctorIdLi2ELi1ELi1EEEJSt7dividesIdEPddEEEvT_T0_DpT1_.has_indirect_call, 0
	.section	.AMDGPU.csdata,"",@progbits
; Kernel info:
; codeLenInByte = 2512
; TotalNumSgprs: 26
; NumVgprs: 49
; ScratchSize: 0
; MemoryBound: 0
; FloatMode: 240
; IeeeMode: 1
; LDSByteSize: 0 bytes/workgroup (compile time only)
; SGPRBlocks: 0
; VGPRBlocks: 6
; NumSGPRsForWavesPerEU: 26
; NumVGPRsForWavesPerEU: 49
; Occupancy: 16
; WaveLimiterHint : 0
; COMPUTE_PGM_RSRC2:SCRATCH_EN: 0
; COMPUTE_PGM_RSRC2:USER_SGPR: 2
; COMPUTE_PGM_RSRC2:TRAP_HANDLER: 0
; COMPUTE_PGM_RSRC2:TGID_X_EN: 1
; COMPUTE_PGM_RSRC2:TGID_Y_EN: 0
; COMPUTE_PGM_RSRC2:TGID_Z_EN: 0
; COMPUTE_PGM_RSRC2:TIDIG_COMP_CNT: 0
	.section	.text._ZN2at6native12_GLOBAL__N_125multi_tensor_apply_kernelINS1_18TensorListMetadataILi2EEENS1_27BinaryOpScalarTensorFunctorIfLi2ELi1ELi1EEEJSt7dividesIfEPffEEEvT_T0_DpT1_,"axG",@progbits,_ZN2at6native12_GLOBAL__N_125multi_tensor_apply_kernelINS1_18TensorListMetadataILi2EEENS1_27BinaryOpScalarTensorFunctorIfLi2ELi1ELi1EEEJSt7dividesIfEPffEEEvT_T0_DpT1_,comdat
	.globl	_ZN2at6native12_GLOBAL__N_125multi_tensor_apply_kernelINS1_18TensorListMetadataILi2EEENS1_27BinaryOpScalarTensorFunctorIfLi2ELi1ELi1EEEJSt7dividesIfEPffEEEvT_T0_DpT1_ ; -- Begin function _ZN2at6native12_GLOBAL__N_125multi_tensor_apply_kernelINS1_18TensorListMetadataILi2EEENS1_27BinaryOpScalarTensorFunctorIfLi2ELi1ELi1EEEJSt7dividesIfEPffEEEvT_T0_DpT1_
	.p2align	8
	.type	_ZN2at6native12_GLOBAL__N_125multi_tensor_apply_kernelINS1_18TensorListMetadataILi2EEENS1_27BinaryOpScalarTensorFunctorIfLi2ELi1ELi1EEEJSt7dividesIfEPffEEEvT_T0_DpT1_,@function
_ZN2at6native12_GLOBAL__N_125multi_tensor_apply_kernelINS1_18TensorListMetadataILi2EEENS1_27BinaryOpScalarTensorFunctorIfLi2ELi1ELi1EEEJSt7dividesIfEPffEEEvT_T0_DpT1_: ; @_ZN2at6native12_GLOBAL__N_125multi_tensor_apply_kernelINS1_18TensorListMetadataILi2EEENS1_27BinaryOpScalarTensorFunctorIfLi2ELi1ELi1EEEJSt7dividesIfEPffEEEvT_T0_DpT1_
; %bb.0:
	s_mov_b32 s2, ttmp9
	s_mov_b32 s3, 0
	s_delay_alu instid0(SALU_CYCLE_1)
	s_mul_u64 s[4:5], s[2:3], 3
	s_add_nc_u64 s[6:7], s[0:1], s[2:3]
	s_mov_b32 s19, s3
	s_add_nc_u64 s[4:5], s[6:7], s[4:5]
	s_clause 0x1
	s_load_b32 s4, s[4:5], 0x740
	s_load_u8 s2, s[0:1], ttmp9 offset:0x600
	s_mov_b32 s21, s3
	s_wait_kmcnt 0x0
	s_ashr_i32 s5, s4, 31
	s_lshl_b32 s2, s2, 3
	s_clause 0x3
	s_load_b64 s[14:15], s[0:1], s2 offset:0x0
	s_load_b64 s[16:17], s[0:1], s2 offset:0x200
	;; [unrolled: 1-line block ×3, first 2 shown]
	s_load_b96 s[8:10], s[0:1], 0xc50
	s_lshl_b64 s[12:13], s[4:5], 18
	s_lshl_b64 s[4:5], s[4:5], 16
	s_wait_kmcnt 0x0
	s_add_nc_u64 s[22:23], s[14:15], s[12:13]
	s_and_b32 s18, s16, 15
	s_and_b32 s20, s6, 3
	s_and_b32 s2, s22, 15
	s_or_b64 s[18:19], s[18:19], s[20:21]
	s_delay_alu instid0(SALU_CYCLE_1)
	s_or_b64 s[2:3], s[18:19], s[2:3]
	s_sub_nc_u64 s[18:19], s[6:7], s[4:5]
	s_cmp_eq_u64 s[2:3], 0
	s_mov_b32 s2, -1
	s_cbranch_scc0 .LBB66_5
; %bb.1:
	v_cmp_gt_i64_e64 s2, 0x10000, s[18:19]
	v_dual_mov_b32 v2, 0 :: v_dual_lshlrev_b32 v1, 2, v0
	s_mov_b32 s7, exec_lo
	s_and_b32 s2, s2, exec_lo
	s_cselect_b32 s21, s19, 0
	s_cselect_b32 s20, s18, 0x10000
	s_delay_alu instid0(SALU_CYCLE_1)
	v_cmpx_gt_i64_e64 s[20:21], v[1:2]
	s_cbranch_execz .LBB66_4
; %bb.2:
	s_load_b32 s2, s[0:1], 0xc6c
	v_lshlrev_b32_e32 v3, 4, v0
	v_mov_b32_e32 v1, v2
	s_mov_b32 s22, 0
	s_delay_alu instid0(VALU_DEP_2) | instskip(NEXT) | instid1(VALU_DEP_1)
	v_add_co_u32 v5, s3, s12, v3
	v_add_co_ci_u32_e64 v6, null, s13, 0, s3
	s_delay_alu instid0(VALU_DEP_3) | instskip(SKIP_2) | instid1(SALU_CYCLE_1)
	v_dual_mov_b32 v4, v1 :: v_dual_mov_b32 v3, v0
	s_wait_kmcnt 0x0
	s_and_b32 s11, s2, 0xffff
	s_lshl_b32 s23, s11, 4
.LBB66_3:                               ; =>This Inner Loop Header: Depth=1
	v_add_co_u32 v7, vcc_lo, s14, v5
	s_wait_alu 0xfffd
	v_add_co_ci_u32_e64 v8, null, s15, v6, vcc_lo
	v_add_co_u32 v3, vcc_lo, v3, s11
	global_load_b32 v1, v2, s[8:9]
	global_load_b128 v[7:10], v[7:8], off
	s_wait_alu 0xfffd
	v_add_co_ci_u32_e64 v4, null, 0, v4, vcc_lo
	v_add_co_u32 v11, vcc_lo, s16, v5
	s_wait_alu 0xfffd
	v_add_co_ci_u32_e64 v12, null, s17, v6, vcc_lo
	s_delay_alu instid0(VALU_DEP_3) | instskip(SKIP_3) | instid1(VALU_DEP_3)
	v_lshlrev_b64_e32 v[13:14], 2, v[3:4]
	v_add_co_u32 v5, s2, v5, s23
	s_wait_alu 0xf1ff
	v_add_co_ci_u32_e64 v6, null, 0, v6, s2
	v_cmp_le_i64_e64 s3, s[20:21], v[13:14]
	s_or_b32 s22, s3, s22
	s_wait_loadcnt 0x1
	v_mul_f32_e32 v1, s10, v1
	s_wait_loadcnt 0x0
	s_delay_alu instid0(VALU_DEP_1) | instskip(NEXT) | instid1(VALU_DEP_1)
	v_div_scale_f32 v15, null, v1, v1, v8
	v_rcp_f32_e32 v22, v15
	s_delay_alu instid0(TRANS32_DEP_1) | instskip(NEXT) | instid1(VALU_DEP_1)
	v_fma_f32 v26, -v15, v22, 1.0
	v_fmac_f32_e32 v22, v26, v22
	v_div_scale_f32 v13, null, v1, v1, v7
	v_div_scale_f32 v19, null, v1, v1, v10
	;; [unrolled: 1-line block ×3, first 2 shown]
	s_delay_alu instid0(VALU_DEP_3) | instskip(NEXT) | instid1(VALU_DEP_2)
	v_rcp_f32_e32 v21, v13
	v_rcp_f32_e32 v24, v19
	v_div_scale_f32 v14, vcc_lo, v7, v1, v7
	s_delay_alu instid0(VALU_DEP_2) | instskip(SKIP_3) | instid1(TRANS32_DEP_3)
	v_rcp_f32_e32 v23, v17
	v_div_scale_f32 v20, s6, v10, v1, v10
	v_div_scale_f32 v16, s4, v8, v1, v8
	;; [unrolled: 1-line block ×3, first 2 shown]
	v_fma_f32 v25, -v13, v21, 1.0
	s_delay_alu instid0(TRANS32_DEP_2) | instskip(NEXT) | instid1(VALU_DEP_4)
	v_fma_f32 v28, -v19, v24, 1.0
	v_mul_f32_e32 v26, v16, v22
	s_delay_alu instid0(TRANS32_DEP_1) | instskip(NEXT) | instid1(VALU_DEP_3)
	v_fma_f32 v27, -v17, v23, 1.0
	v_dual_fmac_f32 v21, v25, v21 :: v_dual_fmac_f32 v24, v28, v24
	s_delay_alu instid0(VALU_DEP_3) | instskip(NEXT) | instid1(VALU_DEP_3)
	v_fma_f32 v30, -v15, v26, v16
	v_fmac_f32_e32 v23, v27, v23
	s_delay_alu instid0(VALU_DEP_3) | instskip(NEXT) | instid1(VALU_DEP_3)
	v_dual_mul_f32 v25, v14, v21 :: v_dual_mul_f32 v28, v20, v24
	v_fmac_f32_e32 v26, v30, v22
	s_delay_alu instid0(VALU_DEP_2) | instskip(NEXT) | instid1(VALU_DEP_3)
	v_fma_f32 v29, -v13, v25, v14
	v_fma_f32 v32, -v19, v28, v20
	v_mul_f32_e32 v27, v18, v23
	s_delay_alu instid0(VALU_DEP_2) | instskip(NEXT) | instid1(VALU_DEP_2)
	v_dual_fmac_f32 v25, v29, v21 :: v_dual_fmac_f32 v28, v32, v24
	v_fma_f32 v31, -v17, v27, v18
	s_delay_alu instid0(VALU_DEP_2) | instskip(SKIP_1) | instid1(VALU_DEP_3)
	v_fma_f32 v13, -v13, v25, v14
	v_fma_f32 v14, -v15, v26, v16
	v_fmac_f32_e32 v27, v31, v23
	v_fma_f32 v16, -v19, v28, v20
	s_wait_alu 0xfffd
	v_div_fmas_f32 v13, v13, v21, v25
	s_mov_b32 vcc_lo, s4
	v_fma_f32 v15, -v17, v27, v18
	s_wait_alu 0xfffe
	v_div_fmas_f32 v14, v14, v22, v26
	s_mov_b32 vcc_lo, s5
	v_div_fixup_f32 v7, v13, v1, v7
	s_wait_alu 0xfffe
	v_div_fmas_f32 v15, v15, v23, v27
	s_mov_b32 vcc_lo, s6
	v_div_fixup_f32 v8, v14, v1, v8
	s_wait_alu 0xfffe
	v_div_fmas_f32 v16, v16, v24, v28
	v_div_fixup_f32 v9, v15, v1, v9
	s_delay_alu instid0(VALU_DEP_2)
	v_div_fixup_f32 v10, v16, v1, v10
	global_store_b128 v[11:12], v[7:10], off
	s_and_not1_b32 exec_lo, exec_lo, s22
	s_cbranch_execnz .LBB66_3
.LBB66_4:
	s_or_b32 exec_lo, exec_lo, s7
	s_mov_b32 s2, 0
.LBB66_5:
	s_wait_alu 0xfffe
	s_and_not1_b32 vcc_lo, exec_lo, s2
	s_wait_alu 0xfffe
	s_cbranch_vccnz .LBB66_25
; %bb.6:
	v_cmp_lt_i64_e64 s2, s[18:19], 1
	s_and_b32 vcc_lo, exec_lo, s2
	s_wait_alu 0xfffe
	s_cbranch_vccnz .LBB66_25
; %bb.7:
	s_load_b32 s0, s[0:1], 0xc6c
	v_cmp_gt_i64_e64 s1, 0x10000, s[18:19]
	v_dual_mov_b32 v2, 0 :: v_dual_lshlrev_b32 v1, 2, v0
	v_cmp_gt_u64_e64 s2, 0x10000, s[18:19]
	s_mov_b32 s5, 0
	s_and_b32 s1, s1, exec_lo
	v_add_co_u32 v5, s1, s16, v1
	v_add_co_u32 v3, s3, s14, v1
	s_cselect_b32 s7, s19, 0
	s_cselect_b32 s6, s18, 0x10000
	v_add_co_ci_u32_e64 v6, null, s17, 0, s1
	v_add_co_ci_u32_e64 v4, null, s15, 0, s3
	s_wait_kmcnt 0x0
	s_and_b32 s0, s0, 0xffff
	s_and_b32 s1, s2, exec_lo
	s_cselect_b32 s19, s19, 0
	s_cselect_b32 s18, s18, 0x10000
	s_wait_alu 0xfffe
	s_mul_i32 s2, s0, 3
	s_lshl_b32 s3, s0, 3
	v_mad_co_u64_u32 v[9:10], null, s0, 12, v[1:2]
	s_wait_alu 0xfffe
	v_add_co_u32 v15, s3, s3, v1
	v_add_co_u32 v1, s2, s2, v0
	s_wait_alu 0xf1ff
	v_add_co_ci_u32_e64 v11, null, 0, 0, s2
	v_add_co_u32 v14, s2, v0, s0
	s_lshl_b32 s1, s0, 1
	v_add_co_u32 v7, vcc_lo, s14, v9
	v_lshlrev_b32_e32 v22, 2, v14
	v_add_co_ci_u32_e64 v16, null, 0, 0, s3
	s_wait_alu 0xfffd
	v_add_co_ci_u32_e64 v8, null, s15, v10, vcc_lo
	v_add_co_u32 v9, vcc_lo, s16, v9
	s_wait_alu 0xfffe
	v_add_co_u32 v18, s1, s1, v0
	s_wait_alu 0xfffd
	v_add_co_ci_u32_e64 v10, null, s17, v10, vcc_lo
	v_add_co_u32 v12, vcc_lo, s14, v15
	s_wait_alu 0xf1ff
	v_add_co_ci_u32_e64 v19, null, 0, 0, s1
	v_add_co_u32 v20, s1, s14, v22
	s_wait_alu 0xfffd
	v_add_co_ci_u32_e64 v13, null, s15, v16, vcc_lo
	v_add_co_u32 v15, vcc_lo, s16, v15
	s_wait_alu 0xf1ff
	v_add_co_ci_u32_e64 v21, null, s15, 0, s1
	v_add_co_u32 v22, s1, s16, v22
	s_wait_alu 0xfffd
	v_add_co_ci_u32_e64 v16, null, s17, v16, vcc_lo
	v_add_co_ci_u32_e64 v17, null, 0, 0, s2
	s_wait_alu 0xf1ff
	v_add_co_ci_u32_e64 v23, null, s17, 0, s1
	s_lshl_b32 s4, s0, 2
	s_lshl_b32 s11, s0, 4
	s_mov_b64 s[14:15], 0
	s_branch .LBB66_9
.LBB66_8:                               ;   in Loop: Header=BB66_9 Depth=1
	s_wait_alu 0xfffe
	s_or_b32 exec_lo, exec_lo, s1
	v_add_co_u32 v3, vcc_lo, v3, s11
	s_wait_alu 0xfffd
	v_add_co_ci_u32_e64 v4, null, 0, v4, vcc_lo
	v_add_co_u32 v5, vcc_lo, v5, s11
	s_wait_alu 0xfffd
	v_add_co_ci_u32_e64 v6, null, 0, v6, vcc_lo
	;; [unrolled: 3-line block ×5, first 2 shown]
	v_add_co_u32 v15, vcc_lo, v15, s11
	s_add_nc_u64 s[14:15], s[14:15], s[4:5]
	s_wait_alu 0xfffd
	v_add_co_ci_u32_e64 v16, null, 0, v16, vcc_lo
	v_add_co_u32 v20, vcc_lo, v20, s11
	s_wait_alu 0xfffe
	v_cmp_ge_i64_e64 s0, s[14:15], s[6:7]
	s_wait_alu 0xfffd
	v_add_co_ci_u32_e64 v21, null, 0, v21, vcc_lo
	v_add_co_u32 v22, vcc_lo, v22, s11
	s_wait_alu 0xfffd
	v_add_co_ci_u32_e64 v23, null, 0, v23, vcc_lo
	s_and_b32 vcc_lo, exec_lo, s0
	s_wait_alu 0xfffe
	s_cbranch_vccnz .LBB66_25
.LBB66_9:                               ; =>This Inner Loop Header: Depth=1
	s_wait_alu 0xfffe
	v_add_co_u32 v24, s0, v0, s14
	s_wait_alu 0xf1ff
	v_add_co_ci_u32_e64 v25, null, 0, s15, s0
	v_mov_b32_e32 v28, 0
	s_delay_alu instid0(VALU_DEP_2)
	v_cmp_gt_u64_e32 vcc_lo, s[18:19], v[24:25]
	s_and_saveexec_b32 s1, vcc_lo
	s_cbranch_execz .LBB66_11
; %bb.10:                               ;   in Loop: Header=BB66_9 Depth=1
	v_add_co_u32 v24, s0, v3, s12
	s_wait_alu 0xf1ff
	v_add_co_ci_u32_e64 v25, null, s13, v4, s0
	global_load_b32 v28, v[24:25], off
.LBB66_11:                              ;   in Loop: Header=BB66_9 Depth=1
	s_wait_alu 0xfffe
	s_or_b32 exec_lo, exec_lo, s1
	v_add_co_u32 v24, s0, v14, s14
	s_wait_alu 0xf1ff
	v_add_co_ci_u32_e64 v25, null, s15, v17, s0
	v_mov_b32_e32 v27, 0
	s_delay_alu instid0(VALU_DEP_2)
	v_cmp_gt_u64_e64 s2, s[18:19], v[24:25]
	v_mov_b32_e32 v24, 0
	s_and_saveexec_b32 s1, s2
	s_cbranch_execz .LBB66_13
; %bb.12:                               ;   in Loop: Header=BB66_9 Depth=1
	v_add_co_u32 v25, s0, v20, s12
	s_wait_alu 0xf1ff
	v_add_co_ci_u32_e64 v26, null, s13, v21, s0
	global_load_b32 v27, v[25:26], off
.LBB66_13:                              ;   in Loop: Header=BB66_9 Depth=1
	s_wait_alu 0xfffe
	s_or_b32 exec_lo, exec_lo, s1
	v_add_co_u32 v25, s0, v18, s14
	s_wait_alu 0xf1ff
	v_add_co_ci_u32_e64 v26, null, s15, v19, s0
	s_delay_alu instid0(VALU_DEP_1)
	v_cmp_gt_u64_e64 s1, s[18:19], v[25:26]
	s_and_saveexec_b32 s3, s1
	s_cbranch_execz .LBB66_15
; %bb.14:                               ;   in Loop: Header=BB66_9 Depth=1
	v_add_co_u32 v24, s0, v12, s12
	s_wait_alu 0xf1ff
	v_add_co_ci_u32_e64 v25, null, s13, v13, s0
	global_load_b32 v24, v[24:25], off
.LBB66_15:                              ;   in Loop: Header=BB66_9 Depth=1
	s_wait_alu 0xfffe
	s_or_b32 exec_lo, exec_lo, s3
	v_add_co_u32 v25, s0, v1, s14
	s_wait_alu 0xf1ff
	v_add_co_ci_u32_e64 v26, null, s15, v11, s0
	s_delay_alu instid0(VALU_DEP_1)
	v_cmp_gt_u64_e64 s0, s[18:19], v[25:26]
	v_mov_b32_e32 v25, 0
	s_and_saveexec_b32 s16, s0
	s_cbranch_execz .LBB66_17
; %bb.16:                               ;   in Loop: Header=BB66_9 Depth=1
	v_add_co_u32 v25, s3, v7, s12
	s_wait_alu 0xf1ff
	v_add_co_ci_u32_e64 v26, null, s13, v8, s3
	global_load_b32 v25, v[25:26], off
.LBB66_17:                              ;   in Loop: Header=BB66_9 Depth=1
	s_wait_alu 0xfffe
	s_or_b32 exec_lo, exec_lo, s16
	global_load_b32 v26, v2, s[8:9]
	s_wait_loadcnt 0x0
	v_mul_f32_e32 v26, s10, v26
	s_and_saveexec_b32 s3, vcc_lo
	s_cbranch_execnz .LBB66_21
; %bb.18:                               ;   in Loop: Header=BB66_9 Depth=1
	s_wait_alu 0xfffe
	s_or_b32 exec_lo, exec_lo, s3
	s_and_saveexec_b32 s3, s2
	s_cbranch_execnz .LBB66_22
.LBB66_19:                              ;   in Loop: Header=BB66_9 Depth=1
	s_wait_alu 0xfffe
	s_or_b32 exec_lo, exec_lo, s3
	s_and_saveexec_b32 s2, s1
	s_cbranch_execnz .LBB66_23
.LBB66_20:                              ;   in Loop: Header=BB66_9 Depth=1
	s_wait_alu 0xfffe
	s_or_b32 exec_lo, exec_lo, s2
	s_and_saveexec_b32 s1, s0
	s_cbranch_execz .LBB66_8
	s_branch .LBB66_24
.LBB66_21:                              ;   in Loop: Header=BB66_9 Depth=1
	s_delay_alu instid0(VALU_DEP_1) | instskip(SKIP_1) | instid1(VALU_DEP_2)
	v_div_scale_f32 v29, null, v26, v26, v28
	v_div_scale_f32 v32, vcc_lo, v28, v26, v28
	v_rcp_f32_e32 v30, v29
	s_delay_alu instid0(TRANS32_DEP_1) | instskip(NEXT) | instid1(VALU_DEP_1)
	v_fma_f32 v31, -v29, v30, 1.0
	v_fmac_f32_e32 v30, v31, v30
	s_delay_alu instid0(VALU_DEP_1) | instskip(NEXT) | instid1(VALU_DEP_1)
	v_mul_f32_e32 v31, v32, v30
	v_fma_f32 v33, -v29, v31, v32
	s_delay_alu instid0(VALU_DEP_1) | instskip(NEXT) | instid1(VALU_DEP_1)
	v_fmac_f32_e32 v31, v33, v30
	v_fma_f32 v29, -v29, v31, v32
	s_wait_alu 0xfffd
	s_delay_alu instid0(VALU_DEP_1) | instskip(NEXT) | instid1(VALU_DEP_1)
	v_div_fmas_f32 v29, v29, v30, v31
	v_div_fixup_f32 v30, v29, v26, v28
	v_add_co_u32 v28, vcc_lo, v5, s12
	s_wait_alu 0xfffd
	v_add_co_ci_u32_e64 v29, null, s13, v6, vcc_lo
	global_store_b32 v[28:29], v30, off
	s_wait_alu 0xfffe
	s_or_b32 exec_lo, exec_lo, s3
	s_and_saveexec_b32 s3, s2
	s_cbranch_execz .LBB66_19
.LBB66_22:                              ;   in Loop: Header=BB66_9 Depth=1
	v_div_scale_f32 v28, null, v26, v26, v27
	v_div_scale_f32 v31, vcc_lo, v27, v26, v27
	s_delay_alu instid0(VALU_DEP_2) | instskip(NEXT) | instid1(TRANS32_DEP_1)
	v_rcp_f32_e32 v29, v28
	v_fma_f32 v30, -v28, v29, 1.0
	s_delay_alu instid0(VALU_DEP_1) | instskip(NEXT) | instid1(VALU_DEP_1)
	v_fmac_f32_e32 v29, v30, v29
	v_mul_f32_e32 v30, v31, v29
	s_delay_alu instid0(VALU_DEP_1) | instskip(NEXT) | instid1(VALU_DEP_1)
	v_fma_f32 v32, -v28, v30, v31
	v_fmac_f32_e32 v30, v32, v29
	s_delay_alu instid0(VALU_DEP_1) | instskip(SKIP_1) | instid1(VALU_DEP_1)
	v_fma_f32 v28, -v28, v30, v31
	s_wait_alu 0xfffd
	v_div_fmas_f32 v28, v28, v29, v30
	s_delay_alu instid0(VALU_DEP_1)
	v_div_fixup_f32 v29, v28, v26, v27
	v_add_co_u32 v27, vcc_lo, v22, s12
	s_wait_alu 0xfffd
	v_add_co_ci_u32_e64 v28, null, s13, v23, vcc_lo
	global_store_b32 v[27:28], v29, off
	s_wait_alu 0xfffe
	s_or_b32 exec_lo, exec_lo, s3
	s_and_saveexec_b32 s2, s1
	s_cbranch_execz .LBB66_20
.LBB66_23:                              ;   in Loop: Header=BB66_9 Depth=1
	v_div_scale_f32 v27, null, v26, v26, v24
	v_div_scale_f32 v30, vcc_lo, v24, v26, v24
	s_delay_alu instid0(VALU_DEP_2) | instskip(NEXT) | instid1(TRANS32_DEP_1)
	v_rcp_f32_e32 v28, v27
	v_fma_f32 v29, -v27, v28, 1.0
	s_delay_alu instid0(VALU_DEP_1) | instskip(NEXT) | instid1(VALU_DEP_1)
	v_fmac_f32_e32 v28, v29, v28
	v_mul_f32_e32 v29, v30, v28
	s_delay_alu instid0(VALU_DEP_1) | instskip(NEXT) | instid1(VALU_DEP_1)
	v_fma_f32 v31, -v27, v29, v30
	v_fmac_f32_e32 v29, v31, v28
	s_delay_alu instid0(VALU_DEP_1) | instskip(SKIP_1) | instid1(VALU_DEP_1)
	v_fma_f32 v27, -v27, v29, v30
	s_wait_alu 0xfffd
	v_div_fmas_f32 v27, v27, v28, v29
	s_delay_alu instid0(VALU_DEP_1)
	v_div_fixup_f32 v24, v27, v26, v24
	v_add_co_u32 v27, vcc_lo, v15, s12
	s_wait_alu 0xfffd
	v_add_co_ci_u32_e64 v28, null, s13, v16, vcc_lo
	global_store_b32 v[27:28], v24, off
	s_wait_alu 0xfffe
	s_or_b32 exec_lo, exec_lo, s2
	s_and_saveexec_b32 s1, s0
	s_cbranch_execz .LBB66_8
.LBB66_24:                              ;   in Loop: Header=BB66_9 Depth=1
	v_div_scale_f32 v24, null, v26, v26, v25
	v_div_scale_f32 v29, vcc_lo, v25, v26, v25
	s_delay_alu instid0(VALU_DEP_2) | instskip(NEXT) | instid1(TRANS32_DEP_1)
	v_rcp_f32_e32 v27, v24
	v_fma_f32 v28, -v24, v27, 1.0
	s_delay_alu instid0(VALU_DEP_1) | instskip(NEXT) | instid1(VALU_DEP_1)
	v_fmac_f32_e32 v27, v28, v27
	v_mul_f32_e32 v28, v29, v27
	s_delay_alu instid0(VALU_DEP_1) | instskip(NEXT) | instid1(VALU_DEP_1)
	v_fma_f32 v30, -v24, v28, v29
	v_fmac_f32_e32 v28, v30, v27
	s_delay_alu instid0(VALU_DEP_1) | instskip(SKIP_1) | instid1(VALU_DEP_1)
	v_fma_f32 v24, -v24, v28, v29
	s_wait_alu 0xfffd
	v_div_fmas_f32 v24, v24, v27, v28
	s_delay_alu instid0(VALU_DEP_1)
	v_div_fixup_f32 v26, v24, v26, v25
	v_add_co_u32 v24, vcc_lo, v9, s12
	s_wait_alu 0xfffd
	v_add_co_ci_u32_e64 v25, null, s13, v10, vcc_lo
	global_store_b32 v[24:25], v26, off
	s_branch .LBB66_8
.LBB66_25:
	s_endpgm
	.section	.rodata,"a",@progbits
	.p2align	6, 0x0
	.amdhsa_kernel _ZN2at6native12_GLOBAL__N_125multi_tensor_apply_kernelINS1_18TensorListMetadataILi2EEENS1_27BinaryOpScalarTensorFunctorIfLi2ELi1ELi1EEEJSt7dividesIfEPffEEEvT_T0_DpT1_
		.amdhsa_group_segment_fixed_size 0
		.amdhsa_private_segment_fixed_size 0
		.amdhsa_kernarg_size 3424
		.amdhsa_user_sgpr_count 2
		.amdhsa_user_sgpr_dispatch_ptr 0
		.amdhsa_user_sgpr_queue_ptr 0
		.amdhsa_user_sgpr_kernarg_segment_ptr 1
		.amdhsa_user_sgpr_dispatch_id 0
		.amdhsa_user_sgpr_private_segment_size 0
		.amdhsa_wavefront_size32 1
		.amdhsa_uses_dynamic_stack 0
		.amdhsa_enable_private_segment 0
		.amdhsa_system_sgpr_workgroup_id_x 1
		.amdhsa_system_sgpr_workgroup_id_y 0
		.amdhsa_system_sgpr_workgroup_id_z 0
		.amdhsa_system_sgpr_workgroup_info 0
		.amdhsa_system_vgpr_workitem_id 0
		.amdhsa_next_free_vgpr 34
		.amdhsa_next_free_sgpr 24
		.amdhsa_reserve_vcc 1
		.amdhsa_float_round_mode_32 0
		.amdhsa_float_round_mode_16_64 0
		.amdhsa_float_denorm_mode_32 3
		.amdhsa_float_denorm_mode_16_64 3
		.amdhsa_fp16_overflow 0
		.amdhsa_workgroup_processor_mode 1
		.amdhsa_memory_ordered 1
		.amdhsa_forward_progress 1
		.amdhsa_inst_pref_size 19
		.amdhsa_round_robin_scheduling 0
		.amdhsa_exception_fp_ieee_invalid_op 0
		.amdhsa_exception_fp_denorm_src 0
		.amdhsa_exception_fp_ieee_div_zero 0
		.amdhsa_exception_fp_ieee_overflow 0
		.amdhsa_exception_fp_ieee_underflow 0
		.amdhsa_exception_fp_ieee_inexact 0
		.amdhsa_exception_int_div_zero 0
	.end_amdhsa_kernel
	.section	.text._ZN2at6native12_GLOBAL__N_125multi_tensor_apply_kernelINS1_18TensorListMetadataILi2EEENS1_27BinaryOpScalarTensorFunctorIfLi2ELi1ELi1EEEJSt7dividesIfEPffEEEvT_T0_DpT1_,"axG",@progbits,_ZN2at6native12_GLOBAL__N_125multi_tensor_apply_kernelINS1_18TensorListMetadataILi2EEENS1_27BinaryOpScalarTensorFunctorIfLi2ELi1ELi1EEEJSt7dividesIfEPffEEEvT_T0_DpT1_,comdat
.Lfunc_end66:
	.size	_ZN2at6native12_GLOBAL__N_125multi_tensor_apply_kernelINS1_18TensorListMetadataILi2EEENS1_27BinaryOpScalarTensorFunctorIfLi2ELi1ELi1EEEJSt7dividesIfEPffEEEvT_T0_DpT1_, .Lfunc_end66-_ZN2at6native12_GLOBAL__N_125multi_tensor_apply_kernelINS1_18TensorListMetadataILi2EEENS1_27BinaryOpScalarTensorFunctorIfLi2ELi1ELi1EEEJSt7dividesIfEPffEEEvT_T0_DpT1_
                                        ; -- End function
	.set _ZN2at6native12_GLOBAL__N_125multi_tensor_apply_kernelINS1_18TensorListMetadataILi2EEENS1_27BinaryOpScalarTensorFunctorIfLi2ELi1ELi1EEEJSt7dividesIfEPffEEEvT_T0_DpT1_.num_vgpr, 34
	.set _ZN2at6native12_GLOBAL__N_125multi_tensor_apply_kernelINS1_18TensorListMetadataILi2EEENS1_27BinaryOpScalarTensorFunctorIfLi2ELi1ELi1EEEJSt7dividesIfEPffEEEvT_T0_DpT1_.num_agpr, 0
	.set _ZN2at6native12_GLOBAL__N_125multi_tensor_apply_kernelINS1_18TensorListMetadataILi2EEENS1_27BinaryOpScalarTensorFunctorIfLi2ELi1ELi1EEEJSt7dividesIfEPffEEEvT_T0_DpT1_.numbered_sgpr, 24
	.set _ZN2at6native12_GLOBAL__N_125multi_tensor_apply_kernelINS1_18TensorListMetadataILi2EEENS1_27BinaryOpScalarTensorFunctorIfLi2ELi1ELi1EEEJSt7dividesIfEPffEEEvT_T0_DpT1_.num_named_barrier, 0
	.set _ZN2at6native12_GLOBAL__N_125multi_tensor_apply_kernelINS1_18TensorListMetadataILi2EEENS1_27BinaryOpScalarTensorFunctorIfLi2ELi1ELi1EEEJSt7dividesIfEPffEEEvT_T0_DpT1_.private_seg_size, 0
	.set _ZN2at6native12_GLOBAL__N_125multi_tensor_apply_kernelINS1_18TensorListMetadataILi2EEENS1_27BinaryOpScalarTensorFunctorIfLi2ELi1ELi1EEEJSt7dividesIfEPffEEEvT_T0_DpT1_.uses_vcc, 1
	.set _ZN2at6native12_GLOBAL__N_125multi_tensor_apply_kernelINS1_18TensorListMetadataILi2EEENS1_27BinaryOpScalarTensorFunctorIfLi2ELi1ELi1EEEJSt7dividesIfEPffEEEvT_T0_DpT1_.uses_flat_scratch, 0
	.set _ZN2at6native12_GLOBAL__N_125multi_tensor_apply_kernelINS1_18TensorListMetadataILi2EEENS1_27BinaryOpScalarTensorFunctorIfLi2ELi1ELi1EEEJSt7dividesIfEPffEEEvT_T0_DpT1_.has_dyn_sized_stack, 0
	.set _ZN2at6native12_GLOBAL__N_125multi_tensor_apply_kernelINS1_18TensorListMetadataILi2EEENS1_27BinaryOpScalarTensorFunctorIfLi2ELi1ELi1EEEJSt7dividesIfEPffEEEvT_T0_DpT1_.has_recursion, 0
	.set _ZN2at6native12_GLOBAL__N_125multi_tensor_apply_kernelINS1_18TensorListMetadataILi2EEENS1_27BinaryOpScalarTensorFunctorIfLi2ELi1ELi1EEEJSt7dividesIfEPffEEEvT_T0_DpT1_.has_indirect_call, 0
	.section	.AMDGPU.csdata,"",@progbits
; Kernel info:
; codeLenInByte = 2388
; TotalNumSgprs: 26
; NumVgprs: 34
; ScratchSize: 0
; MemoryBound: 0
; FloatMode: 240
; IeeeMode: 1
; LDSByteSize: 0 bytes/workgroup (compile time only)
; SGPRBlocks: 0
; VGPRBlocks: 4
; NumSGPRsForWavesPerEU: 26
; NumVGPRsForWavesPerEU: 34
; Occupancy: 16
; WaveLimiterHint : 0
; COMPUTE_PGM_RSRC2:SCRATCH_EN: 0
; COMPUTE_PGM_RSRC2:USER_SGPR: 2
; COMPUTE_PGM_RSRC2:TRAP_HANDLER: 0
; COMPUTE_PGM_RSRC2:TGID_X_EN: 1
; COMPUTE_PGM_RSRC2:TGID_Y_EN: 0
; COMPUTE_PGM_RSRC2:TGID_Z_EN: 0
; COMPUTE_PGM_RSRC2:TIDIG_COMP_CNT: 0
	.section	.text._ZN2at6native12_GLOBAL__N_125multi_tensor_apply_kernelINS1_18TensorListMetadataILi2EEENS1_27BinaryOpScalarTensorFunctorIN3c107complexIdEELi2ELi1ELi1EEEJSt7dividesIS8_EPS8_S8_EEEvT_T0_DpT1_,"axG",@progbits,_ZN2at6native12_GLOBAL__N_125multi_tensor_apply_kernelINS1_18TensorListMetadataILi2EEENS1_27BinaryOpScalarTensorFunctorIN3c107complexIdEELi2ELi1ELi1EEEJSt7dividesIS8_EPS8_S8_EEEvT_T0_DpT1_,comdat
	.globl	_ZN2at6native12_GLOBAL__N_125multi_tensor_apply_kernelINS1_18TensorListMetadataILi2EEENS1_27BinaryOpScalarTensorFunctorIN3c107complexIdEELi2ELi1ELi1EEEJSt7dividesIS8_EPS8_S8_EEEvT_T0_DpT1_ ; -- Begin function _ZN2at6native12_GLOBAL__N_125multi_tensor_apply_kernelINS1_18TensorListMetadataILi2EEENS1_27BinaryOpScalarTensorFunctorIN3c107complexIdEELi2ELi1ELi1EEEJSt7dividesIS8_EPS8_S8_EEEvT_T0_DpT1_
	.p2align	8
	.type	_ZN2at6native12_GLOBAL__N_125multi_tensor_apply_kernelINS1_18TensorListMetadataILi2EEENS1_27BinaryOpScalarTensorFunctorIN3c107complexIdEELi2ELi1ELi1EEEJSt7dividesIS8_EPS8_S8_EEEvT_T0_DpT1_,@function
_ZN2at6native12_GLOBAL__N_125multi_tensor_apply_kernelINS1_18TensorListMetadataILi2EEENS1_27BinaryOpScalarTensorFunctorIN3c107complexIdEELi2ELi1ELi1EEEJSt7dividesIS8_EPS8_S8_EEEvT_T0_DpT1_: ; @_ZN2at6native12_GLOBAL__N_125multi_tensor_apply_kernelINS1_18TensorListMetadataILi2EEENS1_27BinaryOpScalarTensorFunctorIN3c107complexIdEELi2ELi1ELi1EEEJSt7dividesIS8_EPS8_S8_EEEvT_T0_DpT1_
; %bb.0:
	s_mov_b32 s2, ttmp9
	s_mov_b32 s3, 0
	s_delay_alu instid0(SALU_CYCLE_1)
	s_mul_u64 s[4:5], s[2:3], 3
	s_add_nc_u64 s[6:7], s[0:1], s[2:3]
	s_mov_b32 s23, s3
	s_add_nc_u64 s[4:5], s[6:7], s[4:5]
	s_clause 0x1
	s_load_b32 s4, s[4:5], 0x740
	s_load_u8 s2, s[0:1], ttmp9 offset:0x600
	s_wait_kmcnt 0x0
	s_ashr_i32 s5, s4, 31
	s_lshl_b32 s2, s2, 3
	s_clause 0x4
	s_load_b64 s[6:7], s[0:1], s2 offset:0x0
	s_load_b64 s[16:17], s[0:1], s2 offset:0x200
	;; [unrolled: 1-line block ×3, first 2 shown]
	s_load_b128 s[8:11], s[0:1], 0xc60
	s_load_b64 s[12:13], s[0:1], 0xc50
	s_lshl_b64 s[20:21], s[4:5], 20
	s_lshl_b64 s[4:5], s[4:5], 16
	s_wait_kmcnt 0x0
	s_add_nc_u64 s[14:15], s[6:7], s[20:21]
	s_add_nc_u64 s[16:17], s[16:17], s[20:21]
	s_and_b32 s6, s18, 3
	s_and_b32 s22, s16, 63
	s_mov_b32 s7, s3
	s_and_b32 s2, s14, 63
	s_or_b64 s[6:7], s[22:23], s[6:7]
	s_delay_alu instid0(SALU_CYCLE_1)
	s_or_b64 s[2:3], s[6:7], s[2:3]
	s_sub_nc_u64 s[6:7], s[18:19], s[4:5]
	s_cmp_eq_u64 s[2:3], 0
	s_mov_b32 s2, -1
	s_cbranch_scc0 .LBB67_37
; %bb.1:
	v_cmp_gt_i64_e64 s2, 0x10000, s[6:7]
	v_dual_mov_b32 v21, 0 :: v_dual_lshlrev_b32 v20, 2, v0
	s_mov_b32 s26, exec_lo
	s_and_b32 s2, s2, exec_lo
	s_cselect_b32 s19, s7, 0
	s_cselect_b32 s18, s6, 0x10000
	s_delay_alu instid0(SALU_CYCLE_1)
	v_cmpx_gt_i64_e64 s[18:19], v[20:21]
	s_cbranch_execz .LBB67_36
; %bb.2:
	s_load_b32 s2, s[0:1], 0xc7c
	v_dual_mov_b32 v1, v21 :: v_dual_lshlrev_b32 v38, 6, v0
	s_mov_b32 s21, 0
	s_mov_b64 s[22:23], s[14:15]
	s_mov_b32 s28, s21
	s_delay_alu instid0(VALU_DEP_1) | instskip(SKIP_3) | instid1(SALU_CYCLE_1)
	v_dual_mov_b32 v23, v1 :: v_dual_mov_b32 v22, v0
	s_mov_b64 s[24:25], s[16:17]
	s_wait_kmcnt 0x0
	s_and_b32 s27, s2, 0xffff
	s_lshl_b32 s20, s27, 6
	s_branch .LBB67_4
.LBB67_3:                               ;   in Loop: Header=BB67_4 Depth=1
	v_add_co_u32 v22, vcc_lo, v22, s27
	s_wait_alu 0xfffd
	v_add_co_ci_u32_e64 v23, null, 0, v23, vcc_lo
	s_wait_loadcnt 0x3
	v_add_co_u32 v3, s2, s24, v38
	s_wait_alu 0xf1ff
	v_add_co_ci_u32_e64 v4, null, s25, 0, s2
	v_lshlrev_b64_e32 v[1:2], 2, v[22:23]
	s_add_nc_u64 s[24:25], s[24:25], s[20:21]
	s_add_nc_u64 s[22:23], s[22:23], s[20:21]
	global_store_b128 v[3:4], v[5:8], off
	s_wait_loadcnt 0x0
	s_clause 0x2
	global_store_b128 v[3:4], v[13:16], off offset:16
	global_store_b128 v[3:4], v[17:20], off offset:32
	;; [unrolled: 1-line block ×3, first 2 shown]
	v_cmp_le_i64_e32 vcc_lo, s[18:19], v[1:2]
	s_or_b32 s28, vcc_lo, s28
	s_delay_alu instid0(SALU_CYCLE_1)
	s_and_not1_b32 exec_lo, exec_lo, s28
	s_cbranch_execz .LBB67_36
.LBB67_4:                               ; =>This Inner Loop Header: Depth=1
	global_load_b128 v[1:4], v21, s[12:13]
	s_wait_loadcnt 0x0
	v_mul_f64_e32 v[5:6], s[10:11], v[3:4]
	v_mul_f64_e32 v[3:4], s[8:9], v[3:4]
	s_delay_alu instid0(VALU_DEP_2) | instskip(NEXT) | instid1(VALU_DEP_2)
	v_fma_f64 v[5:6], s[8:9], v[1:2], -v[5:6]
	v_fma_f64 v[7:8], s[10:11], v[1:2], v[3:4]
	s_delay_alu instid0(VALU_DEP_2) | instskip(NEXT) | instid1(VALU_DEP_2)
	v_cmp_neq_f64_e64 s3, 0, v[5:6]
	v_div_scale_f64 v[1:2], null, v[5:6], v[5:6], v[7:8]
	v_div_scale_f64 v[11:12], vcc_lo, v[7:8], v[5:6], v[7:8]
	v_cmp_neq_f64_e64 s4, 0, v[7:8]
	s_delay_alu instid0(VALU_DEP_3) | instskip(SKIP_2) | instid1(TRANS32_DEP_1)
	v_rcp_f64_e32 v[3:4], v[1:2]
	s_or_b32 s4, s3, s4
	s_mov_b32 s3, -1
	v_fma_f64 v[9:10], -v[1:2], v[3:4], 1.0
	s_delay_alu instid0(VALU_DEP_1) | instskip(NEXT) | instid1(VALU_DEP_1)
	v_fma_f64 v[3:4], v[3:4], v[9:10], v[3:4]
	v_fma_f64 v[9:10], -v[1:2], v[3:4], 1.0
	s_delay_alu instid0(VALU_DEP_1) | instskip(NEXT) | instid1(VALU_DEP_1)
	v_fma_f64 v[3:4], v[3:4], v[9:10], v[3:4]
	v_mul_f64_e32 v[9:10], v[11:12], v[3:4]
	s_delay_alu instid0(VALU_DEP_1) | instskip(SKIP_1) | instid1(VALU_DEP_1)
	v_fma_f64 v[1:2], -v[1:2], v[9:10], v[11:12]
	s_wait_alu 0xfffd
	v_div_fmas_f64 v[1:2], v[1:2], v[3:4], v[9:10]
	v_div_scale_f64 v[3:4], null, v[7:8], v[7:8], v[5:6]
	s_delay_alu instid0(VALU_DEP_2) | instskip(NEXT) | instid1(VALU_DEP_2)
	v_div_fixup_f64 v[26:27], v[1:2], v[5:6], v[7:8]
	v_rcp_f64_e32 v[11:12], v[3:4]
	s_delay_alu instid0(VALU_DEP_1) | instskip(NEXT) | instid1(TRANS32_DEP_1)
	v_fma_f64 v[32:33], v[7:8], v[26:27], v[5:6]
	v_fma_f64 v[15:16], -v[3:4], v[11:12], 1.0
	s_delay_alu instid0(VALU_DEP_2) | instskip(SKIP_1) | instid1(VALU_DEP_3)
	v_div_scale_f64 v[1:2], null, v[32:33], v[32:33], 1.0
	v_div_scale_f64 v[17:18], vcc_lo, 1.0, v[32:33], 1.0
	v_fma_f64 v[11:12], v[11:12], v[15:16], v[11:12]
	s_delay_alu instid0(VALU_DEP_3) | instskip(NEXT) | instid1(VALU_DEP_1)
	v_rcp_f64_e32 v[9:10], v[1:2]
	v_fma_f64 v[15:16], -v[3:4], v[11:12], 1.0
	s_delay_alu instid0(TRANS32_DEP_1) | instskip(NEXT) | instid1(VALU_DEP_2)
	v_fma_f64 v[13:14], -v[1:2], v[9:10], 1.0
	v_fma_f64 v[11:12], v[11:12], v[15:16], v[11:12]
	s_delay_alu instid0(VALU_DEP_2) | instskip(NEXT) | instid1(VALU_DEP_1)
	v_fma_f64 v[9:10], v[9:10], v[13:14], v[9:10]
	v_fma_f64 v[13:14], -v[1:2], v[9:10], 1.0
	s_delay_alu instid0(VALU_DEP_1) | instskip(SKIP_1) | instid1(VALU_DEP_2)
	v_fma_f64 v[9:10], v[9:10], v[13:14], v[9:10]
	v_div_scale_f64 v[13:14], s2, v[5:6], v[7:8], v[5:6]
	v_mul_f64_e32 v[15:16], v[17:18], v[9:10]
	s_delay_alu instid0(VALU_DEP_2) | instskip(NEXT) | instid1(VALU_DEP_2)
	v_mul_f64_e32 v[19:20], v[13:14], v[11:12]
	v_fma_f64 v[1:2], -v[1:2], v[15:16], v[17:18]
	s_delay_alu instid0(VALU_DEP_2) | instskip(SKIP_1) | instid1(VALU_DEP_2)
	v_fma_f64 v[3:4], -v[3:4], v[19:20], v[13:14]
	s_wait_alu 0xfffd
	v_div_fmas_f64 v[36:37], v[1:2], v[9:10], v[15:16]
	s_mov_b32 vcc_lo, s2
	s_wait_alu 0xfffe
	v_add_co_u32 v13, s2, s22, v38
	s_delay_alu instid0(VALU_DEP_3) | instskip(SKIP_4) | instid1(VALU_DEP_4)
	v_div_fmas_f64 v[1:2], v[3:4], v[11:12], v[19:20]
	s_wait_alu 0xf1ff
	v_add_co_ci_u32_e64 v14, null, s23, 0, s2
	v_cmp_gt_f64_e64 s2, 0, v[5:6]
	v_div_fixup_f64 v[32:33], v[36:37], v[32:33], 1.0
	v_div_fixup_f64 v[24:25], v[1:2], v[7:8], v[5:6]
	s_clause 0x3
	global_load_b128 v[1:4], v[13:14], off offset:48
	global_load_b128 v[9:12], v[13:14], off offset:32
	;; [unrolled: 1-line block ×3, first 2 shown]
	global_load_b128 v[13:16], v[13:14], off
	v_fma_f64 v[34:35], v[5:6], v[24:25], v[7:8]
	s_delay_alu instid0(VALU_DEP_1) | instskip(NEXT) | instid1(VALU_DEP_1)
	v_div_scale_f64 v[28:29], null, v[34:35], v[34:35], 1.0
	v_rcp_f64_e32 v[30:31], v[28:29]
	s_delay_alu instid0(TRANS32_DEP_1) | instskip(NEXT) | instid1(VALU_DEP_1)
	v_fma_f64 v[39:40], -v[28:29], v[30:31], 1.0
	v_fma_f64 v[30:31], v[30:31], v[39:40], v[30:31]
	s_delay_alu instid0(VALU_DEP_1) | instskip(NEXT) | instid1(VALU_DEP_1)
	v_fma_f64 v[39:40], -v[28:29], v[30:31], 1.0
	v_fma_f64 v[39:40], v[30:31], v[39:40], v[30:31]
	v_div_scale_f64 v[30:31], vcc_lo, 1.0, v[34:35], 1.0
	s_delay_alu instid0(VALU_DEP_1) | instskip(NEXT) | instid1(VALU_DEP_1)
	v_mul_f64_e32 v[41:42], v[30:31], v[39:40]
	v_fma_f64 v[43:44], -v[28:29], v[41:42], v[30:31]
	v_xor_b32_e32 v28, 0x80000000, v6
	v_xor_b32_e32 v30, 0x80000000, v8
	s_wait_alu 0xf1ff
	s_delay_alu instid0(VALU_DEP_2)
	v_cndmask_b32_e64 v29, v6, v28, s2
	v_cmp_gt_f64_e64 s2, 0, v[7:8]
	v_mov_b32_e32 v28, v5
	s_wait_alu 0xfffd
	v_div_fmas_f64 v[36:37], v[43:44], v[39:40], v[41:42]
	s_wait_alu 0xf1ff
	s_delay_alu instid0(VALU_DEP_3) | instskip(SKIP_1) | instid1(VALU_DEP_1)
	v_cndmask_b32_e64 v31, v8, v30, s2
	v_mov_b32_e32 v30, v7
                                        ; implicit-def: $vgpr7_vgpr8
	v_cmp_nge_f64_e64 s5, v[28:29], v[30:31]
	v_cmp_ge_f64_e64 s2, v[28:29], v[30:31]
	s_and_b32 vcc_lo, exec_lo, s5
	s_wait_alu 0xfffe
	s_cbranch_vccnz .LBB67_10
; %bb.5:                                ;   in Loop: Header=BB67_4 Depth=1
	s_and_b32 vcc_lo, exec_lo, s4
                                        ; implicit-def: $vgpr7_vgpr8
	s_wait_alu 0xfffe
	s_cbranch_vccz .LBB67_7
; %bb.6:                                ;   in Loop: Header=BB67_4 Depth=1
	s_wait_loadcnt 0x0
	v_fma_f64 v[5:6], v[15:16], v[26:27], v[13:14]
	v_fma_f64 v[7:8], -v[13:14], v[26:27], v[15:16]
	s_mov_b32 s3, 0
	s_delay_alu instid0(VALU_DEP_2) | instskip(NEXT) | instid1(VALU_DEP_2)
	v_mul_f64_e32 v[5:6], v[5:6], v[32:33]
	v_mul_f64_e32 v[7:8], v[7:8], v[32:33]
.LBB67_7:                               ;   in Loop: Header=BB67_4 Depth=1
	s_wait_alu 0xfffe
	s_and_not1_b32 vcc_lo, exec_lo, s3
	s_wait_alu 0xfffe
	s_cbranch_vccnz .LBB67_9
; %bb.8:                                ;   in Loop: Header=BB67_4 Depth=1
	s_wait_loadcnt 0x0
	v_div_scale_f64 v[5:6], null, v[28:29], v[28:29], v[13:14]
	v_div_scale_f64 v[7:8], null, v[30:31], v[30:31], v[15:16]
	v_div_scale_f64 v[47:48], vcc_lo, v[13:14], v[28:29], v[13:14]
	s_delay_alu instid0(VALU_DEP_3) | instskip(NEXT) | instid1(VALU_DEP_2)
	v_rcp_f64_e32 v[39:40], v[5:6]
	v_rcp_f64_e32 v[41:42], v[7:8]
	s_delay_alu instid0(TRANS32_DEP_2) | instskip(NEXT) | instid1(TRANS32_DEP_1)
	v_fma_f64 v[43:44], -v[5:6], v[39:40], 1.0
	v_fma_f64 v[45:46], -v[7:8], v[41:42], 1.0
	s_delay_alu instid0(VALU_DEP_2) | instskip(NEXT) | instid1(VALU_DEP_2)
	v_fma_f64 v[39:40], v[39:40], v[43:44], v[39:40]
	v_fma_f64 v[41:42], v[41:42], v[45:46], v[41:42]
	s_delay_alu instid0(VALU_DEP_2) | instskip(NEXT) | instid1(VALU_DEP_2)
	v_fma_f64 v[43:44], -v[5:6], v[39:40], 1.0
	v_fma_f64 v[45:46], -v[7:8], v[41:42], 1.0
	s_delay_alu instid0(VALU_DEP_2) | instskip(SKIP_1) | instid1(VALU_DEP_3)
	v_fma_f64 v[39:40], v[39:40], v[43:44], v[39:40]
	v_div_scale_f64 v[43:44], s3, v[15:16], v[30:31], v[15:16]
	v_fma_f64 v[41:42], v[41:42], v[45:46], v[41:42]
	s_delay_alu instid0(VALU_DEP_3) | instskip(NEXT) | instid1(VALU_DEP_2)
	v_mul_f64_e32 v[45:46], v[47:48], v[39:40]
	v_mul_f64_e32 v[49:50], v[43:44], v[41:42]
	s_delay_alu instid0(VALU_DEP_2) | instskip(NEXT) | instid1(VALU_DEP_2)
	v_fma_f64 v[5:6], -v[5:6], v[45:46], v[47:48]
	v_fma_f64 v[7:8], -v[7:8], v[49:50], v[43:44]
	s_wait_alu 0xfffd
	s_delay_alu instid0(VALU_DEP_2) | instskip(SKIP_2) | instid1(VALU_DEP_2)
	v_div_fmas_f64 v[5:6], v[5:6], v[39:40], v[45:46]
	s_mov_b32 vcc_lo, s3
	s_wait_alu 0xfffe
	v_div_fmas_f64 v[7:8], v[7:8], v[41:42], v[49:50]
	s_delay_alu instid0(VALU_DEP_2) | instskip(NEXT) | instid1(VALU_DEP_2)
	v_div_fixup_f64 v[5:6], v[5:6], v[28:29], v[13:14]
	v_div_fixup_f64 v[7:8], v[7:8], v[30:31], v[15:16]
.LBB67_9:                               ;   in Loop: Header=BB67_4 Depth=1
	v_div_fixup_f64 v[34:35], v[36:37], v[34:35], 1.0
	s_cbranch_execnz .LBB67_12
	s_branch .LBB67_11
.LBB67_10:                              ;   in Loop: Header=BB67_4 Depth=1
	v_div_fixup_f64 v[34:35], v[36:37], v[34:35], 1.0
	s_and_not1_b32 vcc_lo, exec_lo, s3
	s_wait_alu 0xfffe
	s_cbranch_vccnz .LBB67_12
.LBB67_11:                              ;   in Loop: Header=BB67_4 Depth=1
	s_wait_loadcnt 0x0
	v_fma_f64 v[5:6], v[13:14], v[24:25], v[15:16]
	v_fma_f64 v[7:8], v[15:16], v[24:25], -v[13:14]
	s_delay_alu instid0(VALU_DEP_2) | instskip(NEXT) | instid1(VALU_DEP_2)
	v_mul_f64_e32 v[5:6], v[5:6], v[34:35]
	v_mul_f64_e32 v[7:8], v[7:8], v[34:35]
.LBB67_12:                              ;   in Loop: Header=BB67_4 Depth=1
	v_cndmask_b32_e64 v36, 0, 1, s2
	s_and_not1_b32 vcc_lo, exec_lo, s2
	s_mov_b32 s2, -1
                                        ; implicit-def: $vgpr15_vgpr16
	s_wait_alu 0xfffe
	s_cbranch_vccnz .LBB67_18
; %bb.13:                               ;   in Loop: Header=BB67_4 Depth=1
	s_and_not1_b32 vcc_lo, exec_lo, s4
                                        ; implicit-def: $vgpr15_vgpr16
	s_wait_alu 0xfffe
	s_cbranch_vccnz .LBB67_15
; %bb.14:                               ;   in Loop: Header=BB67_4 Depth=1
	s_wait_loadcnt 0x0
	v_fma_f64 v[13:14], v[19:20], v[26:27], v[17:18]
	v_fma_f64 v[15:16], -v[17:18], v[26:27], v[19:20]
	s_mov_b32 s2, 0
	s_delay_alu instid0(VALU_DEP_2) | instskip(NEXT) | instid1(VALU_DEP_2)
	v_mul_f64_e32 v[13:14], v[13:14], v[32:33]
	v_mul_f64_e32 v[15:16], v[15:16], v[32:33]
.LBB67_15:                              ;   in Loop: Header=BB67_4 Depth=1
	s_wait_alu 0xfffe
	s_and_not1_b32 vcc_lo, exec_lo, s2
	s_wait_alu 0xfffe
	s_cbranch_vccnz .LBB67_17
; %bb.16:                               ;   in Loop: Header=BB67_4 Depth=1
	s_wait_loadcnt 0x0
	v_div_scale_f64 v[13:14], null, v[28:29], v[28:29], v[17:18]
	v_div_scale_f64 v[15:16], null, v[30:31], v[30:31], v[19:20]
	v_div_scale_f64 v[47:48], vcc_lo, v[17:18], v[28:29], v[17:18]
	s_delay_alu instid0(VALU_DEP_3) | instskip(NEXT) | instid1(VALU_DEP_2)
	v_rcp_f64_e32 v[39:40], v[13:14]
	v_rcp_f64_e32 v[41:42], v[15:16]
	s_delay_alu instid0(TRANS32_DEP_2) | instskip(NEXT) | instid1(TRANS32_DEP_1)
	v_fma_f64 v[43:44], -v[13:14], v[39:40], 1.0
	v_fma_f64 v[45:46], -v[15:16], v[41:42], 1.0
	s_delay_alu instid0(VALU_DEP_2) | instskip(NEXT) | instid1(VALU_DEP_2)
	v_fma_f64 v[39:40], v[39:40], v[43:44], v[39:40]
	v_fma_f64 v[41:42], v[41:42], v[45:46], v[41:42]
	s_delay_alu instid0(VALU_DEP_2) | instskip(NEXT) | instid1(VALU_DEP_2)
	v_fma_f64 v[43:44], -v[13:14], v[39:40], 1.0
	v_fma_f64 v[45:46], -v[15:16], v[41:42], 1.0
	s_delay_alu instid0(VALU_DEP_2) | instskip(SKIP_1) | instid1(VALU_DEP_3)
	v_fma_f64 v[39:40], v[39:40], v[43:44], v[39:40]
	v_div_scale_f64 v[43:44], s2, v[19:20], v[30:31], v[19:20]
	v_fma_f64 v[41:42], v[41:42], v[45:46], v[41:42]
	s_delay_alu instid0(VALU_DEP_3) | instskip(NEXT) | instid1(VALU_DEP_2)
	v_mul_f64_e32 v[45:46], v[47:48], v[39:40]
	v_mul_f64_e32 v[49:50], v[43:44], v[41:42]
	s_delay_alu instid0(VALU_DEP_2) | instskip(NEXT) | instid1(VALU_DEP_2)
	v_fma_f64 v[13:14], -v[13:14], v[45:46], v[47:48]
	v_fma_f64 v[15:16], -v[15:16], v[49:50], v[43:44]
	s_wait_alu 0xfffd
	s_delay_alu instid0(VALU_DEP_2) | instskip(SKIP_2) | instid1(VALU_DEP_2)
	v_div_fmas_f64 v[13:14], v[13:14], v[39:40], v[45:46]
	s_mov_b32 vcc_lo, s2
	s_wait_alu 0xfffe
	v_div_fmas_f64 v[15:16], v[15:16], v[41:42], v[49:50]
	s_delay_alu instid0(VALU_DEP_2) | instskip(NEXT) | instid1(VALU_DEP_2)
	v_div_fixup_f64 v[13:14], v[13:14], v[28:29], v[17:18]
	v_div_fixup_f64 v[15:16], v[15:16], v[30:31], v[19:20]
.LBB67_17:                              ;   in Loop: Header=BB67_4 Depth=1
	s_cbranch_execnz .LBB67_20
	s_branch .LBB67_19
.LBB67_18:                              ;   in Loop: Header=BB67_4 Depth=1
	s_and_not1_b32 vcc_lo, exec_lo, s2
	s_wait_alu 0xfffe
	s_cbranch_vccnz .LBB67_20
.LBB67_19:                              ;   in Loop: Header=BB67_4 Depth=1
	s_wait_loadcnt 0x0
	v_fma_f64 v[13:14], v[17:18], v[24:25], v[19:20]
	v_fma_f64 v[15:16], v[19:20], v[24:25], -v[17:18]
	s_delay_alu instid0(VALU_DEP_2) | instskip(NEXT) | instid1(VALU_DEP_2)
	v_mul_f64_e32 v[13:14], v[13:14], v[34:35]
	v_mul_f64_e32 v[15:16], v[15:16], v[34:35]
.LBB67_20:                              ;   in Loop: Header=BB67_4 Depth=1
	v_cmp_ne_u32_e32 vcc_lo, 1, v36
	s_mov_b32 s2, -1
                                        ; implicit-def: $vgpr19_vgpr20
	s_cbranch_vccnz .LBB67_26
; %bb.21:                               ;   in Loop: Header=BB67_4 Depth=1
	s_and_not1_b32 vcc_lo, exec_lo, s4
                                        ; implicit-def: $vgpr19_vgpr20
	s_wait_alu 0xfffe
	s_cbranch_vccnz .LBB67_23
; %bb.22:                               ;   in Loop: Header=BB67_4 Depth=1
	s_wait_loadcnt 0x1
	v_fma_f64 v[17:18], v[11:12], v[26:27], v[9:10]
	v_fma_f64 v[19:20], -v[9:10], v[26:27], v[11:12]
	s_mov_b32 s2, 0
	s_delay_alu instid0(VALU_DEP_2) | instskip(NEXT) | instid1(VALU_DEP_2)
	v_mul_f64_e32 v[17:18], v[17:18], v[32:33]
	v_mul_f64_e32 v[19:20], v[19:20], v[32:33]
.LBB67_23:                              ;   in Loop: Header=BB67_4 Depth=1
	s_wait_alu 0xfffe
	s_and_not1_b32 vcc_lo, exec_lo, s2
	s_wait_alu 0xfffe
	s_cbranch_vccnz .LBB67_25
; %bb.24:                               ;   in Loop: Header=BB67_4 Depth=1
	s_wait_loadcnt 0x1
	v_div_scale_f64 v[17:18], null, v[28:29], v[28:29], v[9:10]
	v_div_scale_f64 v[19:20], null, v[30:31], v[30:31], v[11:12]
	v_div_scale_f64 v[47:48], vcc_lo, v[9:10], v[28:29], v[9:10]
	s_delay_alu instid0(VALU_DEP_3) | instskip(NEXT) | instid1(VALU_DEP_2)
	v_rcp_f64_e32 v[39:40], v[17:18]
	v_rcp_f64_e32 v[41:42], v[19:20]
	s_delay_alu instid0(TRANS32_DEP_2) | instskip(NEXT) | instid1(TRANS32_DEP_1)
	v_fma_f64 v[43:44], -v[17:18], v[39:40], 1.0
	v_fma_f64 v[45:46], -v[19:20], v[41:42], 1.0
	s_delay_alu instid0(VALU_DEP_2) | instskip(NEXT) | instid1(VALU_DEP_2)
	v_fma_f64 v[39:40], v[39:40], v[43:44], v[39:40]
	v_fma_f64 v[41:42], v[41:42], v[45:46], v[41:42]
	s_delay_alu instid0(VALU_DEP_2) | instskip(NEXT) | instid1(VALU_DEP_2)
	v_fma_f64 v[43:44], -v[17:18], v[39:40], 1.0
	v_fma_f64 v[45:46], -v[19:20], v[41:42], 1.0
	s_delay_alu instid0(VALU_DEP_2) | instskip(SKIP_1) | instid1(VALU_DEP_3)
	v_fma_f64 v[39:40], v[39:40], v[43:44], v[39:40]
	v_div_scale_f64 v[43:44], s2, v[11:12], v[30:31], v[11:12]
	v_fma_f64 v[41:42], v[41:42], v[45:46], v[41:42]
	s_delay_alu instid0(VALU_DEP_3) | instskip(NEXT) | instid1(VALU_DEP_2)
	v_mul_f64_e32 v[45:46], v[47:48], v[39:40]
	v_mul_f64_e32 v[49:50], v[43:44], v[41:42]
	s_delay_alu instid0(VALU_DEP_2) | instskip(NEXT) | instid1(VALU_DEP_2)
	v_fma_f64 v[17:18], -v[17:18], v[45:46], v[47:48]
	v_fma_f64 v[19:20], -v[19:20], v[49:50], v[43:44]
	s_wait_alu 0xfffd
	s_delay_alu instid0(VALU_DEP_2) | instskip(SKIP_2) | instid1(VALU_DEP_2)
	v_div_fmas_f64 v[17:18], v[17:18], v[39:40], v[45:46]
	s_mov_b32 vcc_lo, s2
	s_wait_alu 0xfffe
	v_div_fmas_f64 v[19:20], v[19:20], v[41:42], v[49:50]
	s_delay_alu instid0(VALU_DEP_2) | instskip(NEXT) | instid1(VALU_DEP_2)
	v_div_fixup_f64 v[17:18], v[17:18], v[28:29], v[9:10]
	v_div_fixup_f64 v[19:20], v[19:20], v[30:31], v[11:12]
.LBB67_25:                              ;   in Loop: Header=BB67_4 Depth=1
	s_cbranch_execnz .LBB67_28
	s_branch .LBB67_27
.LBB67_26:                              ;   in Loop: Header=BB67_4 Depth=1
	s_wait_alu 0xfffe
	s_and_not1_b32 vcc_lo, exec_lo, s2
	s_wait_alu 0xfffe
	s_cbranch_vccnz .LBB67_28
.LBB67_27:                              ;   in Loop: Header=BB67_4 Depth=1
	s_wait_loadcnt 0x1
	v_fma_f64 v[17:18], v[9:10], v[24:25], v[11:12]
	v_fma_f64 v[9:10], v[11:12], v[24:25], -v[9:10]
	s_delay_alu instid0(VALU_DEP_2) | instskip(NEXT) | instid1(VALU_DEP_2)
	v_mul_f64_e32 v[17:18], v[17:18], v[34:35]
	v_mul_f64_e32 v[19:20], v[9:10], v[34:35]
.LBB67_28:                              ;   in Loop: Header=BB67_4 Depth=1
	v_cmp_ne_u32_e32 vcc_lo, 1, v36
	s_mov_b32 s2, -1
                                        ; implicit-def: $vgpr11_vgpr12
	s_cbranch_vccnz .LBB67_34
; %bb.29:                               ;   in Loop: Header=BB67_4 Depth=1
	s_and_not1_b32 vcc_lo, exec_lo, s4
                                        ; implicit-def: $vgpr11_vgpr12
	s_wait_alu 0xfffe
	s_cbranch_vccnz .LBB67_31
; %bb.30:                               ;   in Loop: Header=BB67_4 Depth=1
	s_wait_loadcnt 0x2
	v_fma_f64 v[9:10], v[3:4], v[26:27], v[1:2]
	v_fma_f64 v[11:12], -v[1:2], v[26:27], v[3:4]
	s_mov_b32 s2, 0
	s_delay_alu instid0(VALU_DEP_2) | instskip(NEXT) | instid1(VALU_DEP_2)
	v_mul_f64_e32 v[9:10], v[9:10], v[32:33]
	v_mul_f64_e32 v[11:12], v[11:12], v[32:33]
.LBB67_31:                              ;   in Loop: Header=BB67_4 Depth=1
	s_wait_alu 0xfffe
	s_and_not1_b32 vcc_lo, exec_lo, s2
	s_wait_alu 0xfffe
	s_cbranch_vccnz .LBB67_33
; %bb.32:                               ;   in Loop: Header=BB67_4 Depth=1
	s_wait_loadcnt 0x2
	v_div_scale_f64 v[9:10], null, v[28:29], v[28:29], v[1:2]
	v_div_scale_f64 v[11:12], null, v[30:31], v[30:31], v[3:4]
	v_div_scale_f64 v[41:42], vcc_lo, v[1:2], v[28:29], v[1:2]
	s_delay_alu instid0(VALU_DEP_3) | instskip(NEXT) | instid1(VALU_DEP_2)
	v_rcp_f64_e32 v[26:27], v[9:10]
	v_rcp_f64_e32 v[32:33], v[11:12]
	s_delay_alu instid0(TRANS32_DEP_2) | instskip(NEXT) | instid1(TRANS32_DEP_1)
	v_fma_f64 v[36:37], -v[9:10], v[26:27], 1.0
	v_fma_f64 v[39:40], -v[11:12], v[32:33], 1.0
	s_delay_alu instid0(VALU_DEP_2) | instskip(NEXT) | instid1(VALU_DEP_2)
	v_fma_f64 v[26:27], v[26:27], v[36:37], v[26:27]
	v_fma_f64 v[32:33], v[32:33], v[39:40], v[32:33]
	s_delay_alu instid0(VALU_DEP_2) | instskip(NEXT) | instid1(VALU_DEP_2)
	v_fma_f64 v[36:37], -v[9:10], v[26:27], 1.0
	v_fma_f64 v[39:40], -v[11:12], v[32:33], 1.0
	s_delay_alu instid0(VALU_DEP_2) | instskip(SKIP_1) | instid1(VALU_DEP_3)
	v_fma_f64 v[26:27], v[26:27], v[36:37], v[26:27]
	v_div_scale_f64 v[36:37], s2, v[3:4], v[30:31], v[3:4]
	v_fma_f64 v[32:33], v[32:33], v[39:40], v[32:33]
	s_delay_alu instid0(VALU_DEP_3) | instskip(NEXT) | instid1(VALU_DEP_2)
	v_mul_f64_e32 v[39:40], v[41:42], v[26:27]
	v_mul_f64_e32 v[43:44], v[36:37], v[32:33]
	s_delay_alu instid0(VALU_DEP_2) | instskip(NEXT) | instid1(VALU_DEP_2)
	v_fma_f64 v[9:10], -v[9:10], v[39:40], v[41:42]
	v_fma_f64 v[11:12], -v[11:12], v[43:44], v[36:37]
	s_wait_alu 0xfffd
	s_delay_alu instid0(VALU_DEP_2) | instskip(SKIP_2) | instid1(VALU_DEP_2)
	v_div_fmas_f64 v[9:10], v[9:10], v[26:27], v[39:40]
	s_mov_b32 vcc_lo, s2
	s_wait_alu 0xfffe
	v_div_fmas_f64 v[11:12], v[11:12], v[32:33], v[43:44]
	s_delay_alu instid0(VALU_DEP_2) | instskip(NEXT) | instid1(VALU_DEP_2)
	v_div_fixup_f64 v[9:10], v[9:10], v[28:29], v[1:2]
	v_div_fixup_f64 v[11:12], v[11:12], v[30:31], v[3:4]
.LBB67_33:                              ;   in Loop: Header=BB67_4 Depth=1
	s_cbranch_execnz .LBB67_3
	s_branch .LBB67_35
.LBB67_34:                              ;   in Loop: Header=BB67_4 Depth=1
	s_wait_alu 0xfffe
	s_and_not1_b32 vcc_lo, exec_lo, s2
	s_wait_alu 0xfffe
	s_cbranch_vccnz .LBB67_3
.LBB67_35:                              ;   in Loop: Header=BB67_4 Depth=1
	s_wait_loadcnt 0x2
	v_fma_f64 v[9:10], v[1:2], v[24:25], v[3:4]
	v_fma_f64 v[1:2], v[3:4], v[24:25], -v[1:2]
	s_delay_alu instid0(VALU_DEP_2) | instskip(NEXT) | instid1(VALU_DEP_2)
	v_mul_f64_e32 v[9:10], v[9:10], v[34:35]
	v_mul_f64_e32 v[11:12], v[1:2], v[34:35]
	s_branch .LBB67_3
.LBB67_36:
	s_or_b32 exec_lo, exec_lo, s26
	s_mov_b32 s2, 0
.LBB67_37:
	s_wait_alu 0xfffe
	s_and_not1_b32 vcc_lo, exec_lo, s2
	s_wait_alu 0xfffe
	s_cbranch_vccnz .LBB67_89
; %bb.38:
	v_cmp_lt_i64_e64 s2, s[6:7], 1
	s_and_b32 vcc_lo, exec_lo, s2
	s_wait_alu 0xfffe
	s_cbranch_vccnz .LBB67_89
; %bb.39:
	s_load_b32 s0, s[0:1], 0xc7c
	v_cmp_gt_i64_e64 s1, 0x10000, s[6:7]
	v_cmp_gt_u64_e64 s2, 0x10000, s[6:7]
	v_mov_b32_e32 v43, 0
	s_mov_b32 s19, 0
	s_mov_b64 s[24:25], 0
	s_and_b32 s1, s1, exec_lo
	s_cselect_b32 s21, s7, 0
	s_cselect_b32 s20, s6, 0x10000
	s_wait_kmcnt 0x0
	s_and_b32 s26, s0, 0xffff
	s_and_b32 s0, s2, exec_lo
	s_cselect_b32 s23, s7, 0
	s_cselect_b32 s22, s6, 0x10000
	s_wait_alu 0xfffe
	s_lshl_b32 s7, s26, 1
	s_mul_i32 s27, s26, 3
	s_lshl_b32 s18, s26, 2
	s_branch .LBB67_41
.LBB67_40:                              ;   in Loop: Header=BB67_41 Depth=1
	s_wait_alu 0xfffe
	s_or_b32 exec_lo, exec_lo, s0
	s_add_nc_u64 s[24:25], s[24:25], s[18:19]
	s_wait_alu 0xfffe
	v_cmp_ge_i64_e64 s0, s[24:25], s[20:21]
	s_and_b32 vcc_lo, exec_lo, s0
	s_wait_alu 0xfffe
	s_cbranch_vccnz .LBB67_89
.LBB67_41:                              ; =>This Inner Loop Header: Depth=1
	v_add_co_u32 v21, s0, s24, v0
	s_wait_alu 0xf1ff
	v_add_co_ci_u32_e64 v22, null, s25, 0, s0
	v_mov_b32_e32 v11, 0
	v_dual_mov_b32 v12, 0 :: v_dual_mov_b32 v19, 0
	s_delay_alu instid0(VALU_DEP_3)
	v_cmp_gt_u64_e64 s0, s[22:23], v[21:22]
	v_dual_mov_b32 v17, 0 :: v_dual_mov_b32 v20, 0
	v_mov_b32_e32 v18, 0
	s_and_saveexec_b32 s1, s0
	s_cbranch_execz .LBB67_43
; %bb.42:                               ;   in Loop: Header=BB67_41 Depth=1
	v_lshlrev_b64_e32 v[1:2], 4, v[21:22]
	s_delay_alu instid0(VALU_DEP_1) | instskip(SKIP_1) | instid1(VALU_DEP_2)
	v_add_co_u32 v1, vcc_lo, s14, v1
	s_wait_alu 0xfffd
	v_add_co_ci_u32_e64 v2, null, s15, v2, vcc_lo
	global_load_b128 v[17:20], v[1:2], off
.LBB67_43:                              ;   in Loop: Header=BB67_41 Depth=1
	s_wait_alu 0xfffe
	s_or_b32 exec_lo, exec_lo, s1
	v_add_co_u32 v23, vcc_lo, v21, s26
	s_wait_alu 0xfffd
	v_add_co_ci_u32_e64 v24, null, 0, v22, vcc_lo
	v_mov_b32_e32 v9, 0
	v_mov_b32_e32 v10, 0
	s_delay_alu instid0(VALU_DEP_3)
	v_cmp_gt_u64_e64 s1, s[22:23], v[23:24]
	s_and_saveexec_b32 s2, s1
	s_cbranch_execz .LBB67_45
; %bb.44:                               ;   in Loop: Header=BB67_41 Depth=1
	v_lshlrev_b64_e32 v[1:2], 4, v[23:24]
	s_delay_alu instid0(VALU_DEP_1) | instskip(SKIP_1) | instid1(VALU_DEP_2)
	v_add_co_u32 v1, vcc_lo, s14, v1
	s_wait_alu 0xfffd
	v_add_co_ci_u32_e64 v2, null, s15, v2, vcc_lo
	global_load_b128 v[9:12], v[1:2], off
.LBB67_45:                              ;   in Loop: Header=BB67_41 Depth=1
	s_wait_alu 0xfffe
	s_or_b32 exec_lo, exec_lo, s2
	v_add_co_u32 v25, vcc_lo, v21, s7
	s_wait_alu 0xfffd
	v_add_co_ci_u32_e64 v26, null, 0, v22, vcc_lo
	v_mov_b32_e32 v3, 0
	v_dual_mov_b32 v4, 0 :: v_dual_mov_b32 v7, 0
	s_delay_alu instid0(VALU_DEP_3)
	v_cmp_gt_u64_e64 s2, s[22:23], v[25:26]
	v_dual_mov_b32 v5, 0 :: v_dual_mov_b32 v8, 0
	v_mov_b32_e32 v6, 0
	s_and_saveexec_b32 s3, s2
	s_cbranch_execz .LBB67_47
; %bb.46:                               ;   in Loop: Header=BB67_41 Depth=1
	v_lshlrev_b64_e32 v[1:2], 4, v[25:26]
	s_delay_alu instid0(VALU_DEP_1) | instskip(SKIP_1) | instid1(VALU_DEP_2)
	v_add_co_u32 v1, vcc_lo, s14, v1
	s_wait_alu 0xfffd
	v_add_co_ci_u32_e64 v2, null, s15, v2, vcc_lo
	global_load_b128 v[5:8], v[1:2], off
.LBB67_47:                              ;   in Loop: Header=BB67_41 Depth=1
	s_wait_alu 0xfffe
	s_or_b32 exec_lo, exec_lo, s3
	v_add_co_u32 v27, vcc_lo, v21, s27
	s_wait_alu 0xfffd
	v_add_co_ci_u32_e64 v28, null, 0, v22, vcc_lo
	v_mov_b32_e32 v1, 0
	v_mov_b32_e32 v2, 0
	s_delay_alu instid0(VALU_DEP_3)
	v_cmp_gt_u64_e64 s3, s[22:23], v[27:28]
	s_and_saveexec_b32 s4, s3
	s_cbranch_execz .LBB67_49
; %bb.48:                               ;   in Loop: Header=BB67_41 Depth=1
	v_lshlrev_b64_e32 v[1:2], 4, v[27:28]
	s_delay_alu instid0(VALU_DEP_1) | instskip(SKIP_1) | instid1(VALU_DEP_2)
	v_add_co_u32 v1, vcc_lo, s14, v1
	s_wait_alu 0xfffd
	v_add_co_ci_u32_e64 v2, null, s15, v2, vcc_lo
	global_load_b128 v[1:4], v[1:2], off
.LBB67_49:                              ;   in Loop: Header=BB67_41 Depth=1
	s_wait_alu 0xfffe
	s_or_b32 exec_lo, exec_lo, s4
	global_load_b128 v[13:16], v43, s[12:13]
	s_wait_loadcnt 0x0
	v_mul_f64_e32 v[29:30], s[10:11], v[15:16]
	v_mul_f64_e32 v[15:16], s[8:9], v[15:16]
	s_delay_alu instid0(VALU_DEP_2) | instskip(NEXT) | instid1(VALU_DEP_2)
	v_fma_f64 v[37:38], s[8:9], v[13:14], -v[29:30]
	v_fma_f64 v[13:14], s[10:11], v[13:14], v[15:16]
	s_delay_alu instid0(VALU_DEP_2) | instskip(NEXT) | instid1(VALU_DEP_2)
	v_cmp_neq_f64_e64 s5, 0, v[37:38]
	v_div_scale_f64 v[15:16], null, v[37:38], v[37:38], v[13:14]
	v_div_scale_f64 v[33:34], vcc_lo, v[13:14], v[37:38], v[13:14]
	v_cmp_neq_f64_e64 s6, 0, v[13:14]
	s_delay_alu instid0(VALU_DEP_3) | instskip(SKIP_2) | instid1(TRANS32_DEP_1)
	v_rcp_f64_e32 v[29:30], v[15:16]
	s_or_b32 s6, s5, s6
	s_mov_b32 s5, -1
	v_fma_f64 v[31:32], -v[15:16], v[29:30], 1.0
	s_delay_alu instid0(VALU_DEP_1) | instskip(NEXT) | instid1(VALU_DEP_1)
	v_fma_f64 v[29:30], v[29:30], v[31:32], v[29:30]
	v_fma_f64 v[31:32], -v[15:16], v[29:30], 1.0
	s_delay_alu instid0(VALU_DEP_1) | instskip(NEXT) | instid1(VALU_DEP_1)
	v_fma_f64 v[29:30], v[29:30], v[31:32], v[29:30]
	v_mul_f64_e32 v[31:32], v[33:34], v[29:30]
	s_delay_alu instid0(VALU_DEP_1) | instskip(SKIP_1) | instid1(VALU_DEP_1)
	v_fma_f64 v[15:16], -v[15:16], v[31:32], v[33:34]
	s_wait_alu 0xfffd
	v_div_fmas_f64 v[15:16], v[15:16], v[29:30], v[31:32]
	v_div_scale_f64 v[31:32], null, v[13:14], v[13:14], v[37:38]
	s_delay_alu instid0(VALU_DEP_2) | instskip(NEXT) | instid1(VALU_DEP_2)
	v_div_fixup_f64 v[35:36], v[15:16], v[37:38], v[13:14]
	v_rcp_f64_e32 v[39:40], v[31:32]
	s_delay_alu instid0(VALU_DEP_1) | instskip(NEXT) | instid1(TRANS32_DEP_1)
	v_fma_f64 v[15:16], v[13:14], v[35:36], v[37:38]
	v_fma_f64 v[44:45], -v[31:32], v[39:40], 1.0
	s_delay_alu instid0(VALU_DEP_2) | instskip(SKIP_1) | instid1(VALU_DEP_3)
	v_div_scale_f64 v[29:30], null, v[15:16], v[15:16], 1.0
	v_div_scale_f64 v[46:47], vcc_lo, 1.0, v[15:16], 1.0
	v_fma_f64 v[39:40], v[39:40], v[44:45], v[39:40]
	s_delay_alu instid0(VALU_DEP_3) | instskip(NEXT) | instid1(VALU_DEP_1)
	v_rcp_f64_e32 v[33:34], v[29:30]
	v_fma_f64 v[44:45], -v[31:32], v[39:40], 1.0
	s_delay_alu instid0(TRANS32_DEP_1) | instskip(NEXT) | instid1(VALU_DEP_2)
	v_fma_f64 v[41:42], -v[29:30], v[33:34], 1.0
	v_fma_f64 v[39:40], v[39:40], v[44:45], v[39:40]
	s_delay_alu instid0(VALU_DEP_2) | instskip(NEXT) | instid1(VALU_DEP_1)
	v_fma_f64 v[33:34], v[33:34], v[41:42], v[33:34]
	v_fma_f64 v[41:42], -v[29:30], v[33:34], 1.0
	s_delay_alu instid0(VALU_DEP_1) | instskip(SKIP_1) | instid1(VALU_DEP_2)
	v_fma_f64 v[33:34], v[33:34], v[41:42], v[33:34]
	v_div_scale_f64 v[41:42], s4, v[37:38], v[13:14], v[37:38]
	v_mul_f64_e32 v[44:45], v[46:47], v[33:34]
	s_delay_alu instid0(VALU_DEP_2) | instskip(NEXT) | instid1(VALU_DEP_2)
	v_mul_f64_e32 v[48:49], v[41:42], v[39:40]
	v_fma_f64 v[29:30], -v[29:30], v[44:45], v[46:47]
	s_delay_alu instid0(VALU_DEP_2) | instskip(SKIP_1) | instid1(VALU_DEP_2)
	v_fma_f64 v[31:32], -v[31:32], v[48:49], v[41:42]
	s_wait_alu 0xfffd
	v_div_fmas_f64 v[41:42], v[29:30], v[33:34], v[44:45]
	s_mov_b32 vcc_lo, s4
	v_cmp_gt_f64_e64 s4, 0, v[37:38]
	s_wait_alu 0xfffe
	s_delay_alu instid0(VALU_DEP_3) | instskip(NEXT) | instid1(VALU_DEP_1)
	v_div_fmas_f64 v[29:30], v[31:32], v[39:40], v[48:49]
	v_div_fixup_f64 v[29:30], v[29:30], v[13:14], v[37:38]
	s_delay_alu instid0(VALU_DEP_1) | instskip(NEXT) | instid1(VALU_DEP_1)
	v_fma_f64 v[39:40], v[37:38], v[29:30], v[13:14]
	v_div_scale_f64 v[31:32], null, v[39:40], v[39:40], 1.0
	s_delay_alu instid0(VALU_DEP_1) | instskip(NEXT) | instid1(TRANS32_DEP_1)
	v_rcp_f64_e32 v[33:34], v[31:32]
	v_fma_f64 v[44:45], -v[31:32], v[33:34], 1.0
	s_delay_alu instid0(VALU_DEP_1) | instskip(NEXT) | instid1(VALU_DEP_1)
	v_fma_f64 v[33:34], v[33:34], v[44:45], v[33:34]
	v_fma_f64 v[44:45], -v[31:32], v[33:34], 1.0
	s_delay_alu instid0(VALU_DEP_1) | instskip(SKIP_1) | instid1(VALU_DEP_1)
	v_fma_f64 v[44:45], v[33:34], v[44:45], v[33:34]
	v_div_scale_f64 v[33:34], vcc_lo, 1.0, v[39:40], 1.0
	v_mul_f64_e32 v[46:47], v[33:34], v[44:45]
	s_delay_alu instid0(VALU_DEP_1) | instskip(SKIP_3) | instid1(VALU_DEP_2)
	v_fma_f64 v[48:49], -v[31:32], v[46:47], v[33:34]
	v_xor_b32_e32 v31, 0x80000000, v38
	v_xor_b32_e32 v33, 0x80000000, v14
	s_wait_alu 0xf1ff
	v_cndmask_b32_e64 v32, v38, v31, s4
	v_cmp_gt_f64_e64 s4, 0, v[13:14]
	v_mov_b32_e32 v31, v37
	v_div_fixup_f64 v[37:38], v[41:42], v[15:16], 1.0
	s_wait_alu 0xfffd
	v_div_fmas_f64 v[41:42], v[48:49], v[44:45], v[46:47]
	s_wait_alu 0xf1ff
	s_delay_alu instid0(VALU_DEP_4) | instskip(SKIP_1) | instid1(VALU_DEP_1)
	v_cndmask_b32_e64 v34, v14, v33, s4
	v_mov_b32_e32 v33, v13
                                        ; implicit-def: $vgpr15_vgpr16
	v_cmp_ge_f64_e64 s4, v[31:32], v[33:34]
	s_and_b32 vcc_lo, exec_lo, s4
	s_wait_alu 0xfffe
	s_cbranch_vccz .LBB67_55
; %bb.50:                               ;   in Loop: Header=BB67_41 Depth=1
	s_and_b32 vcc_lo, exec_lo, s6
                                        ; implicit-def: $vgpr15_vgpr16
	s_wait_alu 0xfffe
	s_cbranch_vccz .LBB67_52
; %bb.51:                               ;   in Loop: Header=BB67_41 Depth=1
	v_fma_f64 v[13:14], v[19:20], v[35:36], v[17:18]
	v_fma_f64 v[15:16], -v[17:18], v[35:36], v[19:20]
	s_mov_b32 s5, 0
	s_delay_alu instid0(VALU_DEP_2) | instskip(NEXT) | instid1(VALU_DEP_2)
	v_mul_f64_e32 v[13:14], v[13:14], v[37:38]
	v_mul_f64_e32 v[15:16], v[15:16], v[37:38]
.LBB67_52:                              ;   in Loop: Header=BB67_41 Depth=1
	s_wait_alu 0xfffe
	s_and_not1_b32 vcc_lo, exec_lo, s5
	s_wait_alu 0xfffe
	s_cbranch_vccnz .LBB67_54
; %bb.53:                               ;   in Loop: Header=BB67_41 Depth=1
	v_div_scale_f64 v[13:14], null, v[31:32], v[31:32], v[17:18]
	v_div_scale_f64 v[15:16], null, v[33:34], v[33:34], v[19:20]
	v_div_scale_f64 v[52:53], vcc_lo, v[17:18], v[31:32], v[17:18]
	s_delay_alu instid0(VALU_DEP_3) | instskip(NEXT) | instid1(VALU_DEP_2)
	v_rcp_f64_e32 v[44:45], v[13:14]
	v_rcp_f64_e32 v[46:47], v[15:16]
	s_delay_alu instid0(TRANS32_DEP_2) | instskip(NEXT) | instid1(TRANS32_DEP_1)
	v_fma_f64 v[48:49], -v[13:14], v[44:45], 1.0
	v_fma_f64 v[50:51], -v[15:16], v[46:47], 1.0
	s_delay_alu instid0(VALU_DEP_2) | instskip(NEXT) | instid1(VALU_DEP_2)
	v_fma_f64 v[44:45], v[44:45], v[48:49], v[44:45]
	v_fma_f64 v[46:47], v[46:47], v[50:51], v[46:47]
	s_delay_alu instid0(VALU_DEP_2) | instskip(NEXT) | instid1(VALU_DEP_2)
	v_fma_f64 v[48:49], -v[13:14], v[44:45], 1.0
	v_fma_f64 v[50:51], -v[15:16], v[46:47], 1.0
	s_delay_alu instid0(VALU_DEP_2) | instskip(SKIP_1) | instid1(VALU_DEP_3)
	v_fma_f64 v[44:45], v[44:45], v[48:49], v[44:45]
	v_div_scale_f64 v[48:49], s5, v[19:20], v[33:34], v[19:20]
	v_fma_f64 v[46:47], v[46:47], v[50:51], v[46:47]
	s_delay_alu instid0(VALU_DEP_3) | instskip(NEXT) | instid1(VALU_DEP_2)
	v_mul_f64_e32 v[50:51], v[52:53], v[44:45]
	v_mul_f64_e32 v[54:55], v[48:49], v[46:47]
	s_delay_alu instid0(VALU_DEP_2) | instskip(NEXT) | instid1(VALU_DEP_2)
	v_fma_f64 v[13:14], -v[13:14], v[50:51], v[52:53]
	v_fma_f64 v[15:16], -v[15:16], v[54:55], v[48:49]
	s_wait_alu 0xfffd
	s_delay_alu instid0(VALU_DEP_2) | instskip(SKIP_2) | instid1(VALU_DEP_2)
	v_div_fmas_f64 v[13:14], v[13:14], v[44:45], v[50:51]
	s_mov_b32 vcc_lo, s5
	s_wait_alu 0xfffe
	v_div_fmas_f64 v[15:16], v[15:16], v[46:47], v[54:55]
	s_delay_alu instid0(VALU_DEP_2) | instskip(NEXT) | instid1(VALU_DEP_2)
	v_div_fixup_f64 v[13:14], v[13:14], v[31:32], v[17:18]
	v_div_fixup_f64 v[15:16], v[15:16], v[33:34], v[19:20]
.LBB67_54:                              ;   in Loop: Header=BB67_41 Depth=1
	v_div_fixup_f64 v[39:40], v[41:42], v[39:40], 1.0
	s_cbranch_execnz .LBB67_57
	s_branch .LBB67_56
.LBB67_55:                              ;   in Loop: Header=BB67_41 Depth=1
	v_div_fixup_f64 v[39:40], v[41:42], v[39:40], 1.0
	s_and_not1_b32 vcc_lo, exec_lo, s5
	s_wait_alu 0xfffe
	s_cbranch_vccnz .LBB67_57
.LBB67_56:                              ;   in Loop: Header=BB67_41 Depth=1
	v_fma_f64 v[13:14], v[17:18], v[29:30], v[19:20]
	v_fma_f64 v[15:16], v[19:20], v[29:30], -v[17:18]
	s_delay_alu instid0(VALU_DEP_2) | instskip(NEXT) | instid1(VALU_DEP_2)
	v_mul_f64_e32 v[13:14], v[13:14], v[39:40]
	v_mul_f64_e32 v[15:16], v[15:16], v[39:40]
.LBB67_57:                              ;   in Loop: Header=BB67_41 Depth=1
	v_cndmask_b32_e64 v41, 0, 1, s4
	s_and_not1_b32 vcc_lo, exec_lo, s4
	s_mov_b32 s4, -1
                                        ; implicit-def: $vgpr19_vgpr20
	s_wait_alu 0xfffe
	s_cbranch_vccnz .LBB67_63
; %bb.58:                               ;   in Loop: Header=BB67_41 Depth=1
	s_and_not1_b32 vcc_lo, exec_lo, s6
                                        ; implicit-def: $vgpr19_vgpr20
	s_wait_alu 0xfffe
	s_cbranch_vccnz .LBB67_60
; %bb.59:                               ;   in Loop: Header=BB67_41 Depth=1
	v_fma_f64 v[17:18], v[11:12], v[35:36], v[9:10]
	v_fma_f64 v[19:20], -v[9:10], v[35:36], v[11:12]
	s_mov_b32 s4, 0
	s_delay_alu instid0(VALU_DEP_2) | instskip(NEXT) | instid1(VALU_DEP_2)
	v_mul_f64_e32 v[17:18], v[17:18], v[37:38]
	v_mul_f64_e32 v[19:20], v[19:20], v[37:38]
.LBB67_60:                              ;   in Loop: Header=BB67_41 Depth=1
	s_wait_alu 0xfffe
	s_and_not1_b32 vcc_lo, exec_lo, s4
	s_wait_alu 0xfffe
	s_cbranch_vccnz .LBB67_62
; %bb.61:                               ;   in Loop: Header=BB67_41 Depth=1
	v_div_scale_f64 v[17:18], null, v[31:32], v[31:32], v[9:10]
	v_div_scale_f64 v[19:20], null, v[33:34], v[33:34], v[11:12]
	v_div_scale_f64 v[52:53], vcc_lo, v[9:10], v[31:32], v[9:10]
	s_delay_alu instid0(VALU_DEP_3) | instskip(NEXT) | instid1(VALU_DEP_2)
	v_rcp_f64_e32 v[44:45], v[17:18]
	v_rcp_f64_e32 v[46:47], v[19:20]
	s_delay_alu instid0(TRANS32_DEP_2) | instskip(NEXT) | instid1(TRANS32_DEP_1)
	v_fma_f64 v[48:49], -v[17:18], v[44:45], 1.0
	v_fma_f64 v[50:51], -v[19:20], v[46:47], 1.0
	s_delay_alu instid0(VALU_DEP_2) | instskip(NEXT) | instid1(VALU_DEP_2)
	v_fma_f64 v[44:45], v[44:45], v[48:49], v[44:45]
	v_fma_f64 v[46:47], v[46:47], v[50:51], v[46:47]
	s_delay_alu instid0(VALU_DEP_2) | instskip(NEXT) | instid1(VALU_DEP_2)
	v_fma_f64 v[48:49], -v[17:18], v[44:45], 1.0
	v_fma_f64 v[50:51], -v[19:20], v[46:47], 1.0
	s_delay_alu instid0(VALU_DEP_2) | instskip(SKIP_1) | instid1(VALU_DEP_3)
	v_fma_f64 v[44:45], v[44:45], v[48:49], v[44:45]
	v_div_scale_f64 v[48:49], s4, v[11:12], v[33:34], v[11:12]
	v_fma_f64 v[46:47], v[46:47], v[50:51], v[46:47]
	s_delay_alu instid0(VALU_DEP_3) | instskip(NEXT) | instid1(VALU_DEP_2)
	v_mul_f64_e32 v[50:51], v[52:53], v[44:45]
	v_mul_f64_e32 v[54:55], v[48:49], v[46:47]
	s_delay_alu instid0(VALU_DEP_2) | instskip(NEXT) | instid1(VALU_DEP_2)
	v_fma_f64 v[17:18], -v[17:18], v[50:51], v[52:53]
	v_fma_f64 v[19:20], -v[19:20], v[54:55], v[48:49]
	s_wait_alu 0xfffd
	s_delay_alu instid0(VALU_DEP_2) | instskip(SKIP_2) | instid1(VALU_DEP_2)
	v_div_fmas_f64 v[17:18], v[17:18], v[44:45], v[50:51]
	s_mov_b32 vcc_lo, s4
	s_wait_alu 0xfffe
	v_div_fmas_f64 v[19:20], v[19:20], v[46:47], v[54:55]
	s_delay_alu instid0(VALU_DEP_2) | instskip(NEXT) | instid1(VALU_DEP_2)
	v_div_fixup_f64 v[17:18], v[17:18], v[31:32], v[9:10]
	v_div_fixup_f64 v[19:20], v[19:20], v[33:34], v[11:12]
.LBB67_62:                              ;   in Loop: Header=BB67_41 Depth=1
	s_cbranch_execnz .LBB67_65
	s_branch .LBB67_64
.LBB67_63:                              ;   in Loop: Header=BB67_41 Depth=1
	s_and_not1_b32 vcc_lo, exec_lo, s4
	s_wait_alu 0xfffe
	s_cbranch_vccnz .LBB67_65
.LBB67_64:                              ;   in Loop: Header=BB67_41 Depth=1
	v_fma_f64 v[17:18], v[9:10], v[29:30], v[11:12]
	v_fma_f64 v[9:10], v[11:12], v[29:30], -v[9:10]
	s_delay_alu instid0(VALU_DEP_2) | instskip(NEXT) | instid1(VALU_DEP_2)
	v_mul_f64_e32 v[17:18], v[17:18], v[39:40]
	v_mul_f64_e32 v[19:20], v[9:10], v[39:40]
.LBB67_65:                              ;   in Loop: Header=BB67_41 Depth=1
	v_cmp_ne_u32_e32 vcc_lo, 1, v41
	s_mov_b32 s4, -1
                                        ; implicit-def: $vgpr11_vgpr12
	s_cbranch_vccnz .LBB67_71
; %bb.66:                               ;   in Loop: Header=BB67_41 Depth=1
	s_and_not1_b32 vcc_lo, exec_lo, s6
                                        ; implicit-def: $vgpr11_vgpr12
	s_wait_alu 0xfffe
	s_cbranch_vccnz .LBB67_68
; %bb.67:                               ;   in Loop: Header=BB67_41 Depth=1
	v_fma_f64 v[9:10], v[7:8], v[35:36], v[5:6]
	v_fma_f64 v[11:12], -v[5:6], v[35:36], v[7:8]
	s_mov_b32 s4, 0
	s_delay_alu instid0(VALU_DEP_2) | instskip(NEXT) | instid1(VALU_DEP_2)
	v_mul_f64_e32 v[9:10], v[9:10], v[37:38]
	v_mul_f64_e32 v[11:12], v[11:12], v[37:38]
.LBB67_68:                              ;   in Loop: Header=BB67_41 Depth=1
	s_wait_alu 0xfffe
	s_and_not1_b32 vcc_lo, exec_lo, s4
	s_wait_alu 0xfffe
	s_cbranch_vccnz .LBB67_70
; %bb.69:                               ;   in Loop: Header=BB67_41 Depth=1
	v_div_scale_f64 v[9:10], null, v[31:32], v[31:32], v[5:6]
	v_div_scale_f64 v[11:12], null, v[33:34], v[33:34], v[7:8]
	v_div_scale_f64 v[52:53], vcc_lo, v[5:6], v[31:32], v[5:6]
	s_delay_alu instid0(VALU_DEP_3) | instskip(NEXT) | instid1(VALU_DEP_2)
	v_rcp_f64_e32 v[44:45], v[9:10]
	v_rcp_f64_e32 v[46:47], v[11:12]
	s_delay_alu instid0(TRANS32_DEP_2) | instskip(NEXT) | instid1(TRANS32_DEP_1)
	v_fma_f64 v[48:49], -v[9:10], v[44:45], 1.0
	v_fma_f64 v[50:51], -v[11:12], v[46:47], 1.0
	s_delay_alu instid0(VALU_DEP_2) | instskip(NEXT) | instid1(VALU_DEP_2)
	v_fma_f64 v[44:45], v[44:45], v[48:49], v[44:45]
	v_fma_f64 v[46:47], v[46:47], v[50:51], v[46:47]
	s_delay_alu instid0(VALU_DEP_2) | instskip(NEXT) | instid1(VALU_DEP_2)
	v_fma_f64 v[48:49], -v[9:10], v[44:45], 1.0
	v_fma_f64 v[50:51], -v[11:12], v[46:47], 1.0
	s_delay_alu instid0(VALU_DEP_2) | instskip(SKIP_1) | instid1(VALU_DEP_3)
	v_fma_f64 v[44:45], v[44:45], v[48:49], v[44:45]
	v_div_scale_f64 v[48:49], s4, v[7:8], v[33:34], v[7:8]
	v_fma_f64 v[46:47], v[46:47], v[50:51], v[46:47]
	s_delay_alu instid0(VALU_DEP_3) | instskip(NEXT) | instid1(VALU_DEP_2)
	v_mul_f64_e32 v[50:51], v[52:53], v[44:45]
	v_mul_f64_e32 v[54:55], v[48:49], v[46:47]
	s_delay_alu instid0(VALU_DEP_2) | instskip(NEXT) | instid1(VALU_DEP_2)
	v_fma_f64 v[9:10], -v[9:10], v[50:51], v[52:53]
	v_fma_f64 v[11:12], -v[11:12], v[54:55], v[48:49]
	s_wait_alu 0xfffd
	s_delay_alu instid0(VALU_DEP_2) | instskip(SKIP_2) | instid1(VALU_DEP_2)
	v_div_fmas_f64 v[9:10], v[9:10], v[44:45], v[50:51]
	s_mov_b32 vcc_lo, s4
	s_wait_alu 0xfffe
	v_div_fmas_f64 v[11:12], v[11:12], v[46:47], v[54:55]
	s_delay_alu instid0(VALU_DEP_2) | instskip(NEXT) | instid1(VALU_DEP_2)
	v_div_fixup_f64 v[9:10], v[9:10], v[31:32], v[5:6]
	v_div_fixup_f64 v[11:12], v[11:12], v[33:34], v[7:8]
.LBB67_70:                              ;   in Loop: Header=BB67_41 Depth=1
	s_cbranch_execnz .LBB67_73
	s_branch .LBB67_72
.LBB67_71:                              ;   in Loop: Header=BB67_41 Depth=1
	s_wait_alu 0xfffe
	s_and_not1_b32 vcc_lo, exec_lo, s4
	s_wait_alu 0xfffe
	s_cbranch_vccnz .LBB67_73
.LBB67_72:                              ;   in Loop: Header=BB67_41 Depth=1
	v_fma_f64 v[9:10], v[5:6], v[29:30], v[7:8]
	v_fma_f64 v[5:6], v[7:8], v[29:30], -v[5:6]
	s_delay_alu instid0(VALU_DEP_2) | instskip(NEXT) | instid1(VALU_DEP_2)
	v_mul_f64_e32 v[9:10], v[9:10], v[39:40]
	v_mul_f64_e32 v[11:12], v[5:6], v[39:40]
.LBB67_73:                              ;   in Loop: Header=BB67_41 Depth=1
	v_cmp_ne_u32_e32 vcc_lo, 1, v41
	s_mov_b32 s4, -1
                                        ; implicit-def: $vgpr7_vgpr8
	s_cbranch_vccnz .LBB67_83
; %bb.74:                               ;   in Loop: Header=BB67_41 Depth=1
	s_and_not1_b32 vcc_lo, exec_lo, s6
                                        ; implicit-def: $vgpr7_vgpr8
	s_wait_alu 0xfffe
	s_cbranch_vccnz .LBB67_76
; %bb.75:                               ;   in Loop: Header=BB67_41 Depth=1
	v_fma_f64 v[5:6], v[3:4], v[35:36], v[1:2]
	v_fma_f64 v[7:8], -v[1:2], v[35:36], v[3:4]
	s_mov_b32 s4, 0
	s_delay_alu instid0(VALU_DEP_2) | instskip(NEXT) | instid1(VALU_DEP_2)
	v_mul_f64_e32 v[5:6], v[5:6], v[37:38]
	v_mul_f64_e32 v[7:8], v[7:8], v[37:38]
.LBB67_76:                              ;   in Loop: Header=BB67_41 Depth=1
	s_wait_alu 0xfffe
	s_and_not1_b32 vcc_lo, exec_lo, s4
	s_wait_alu 0xfffe
	s_cbranch_vccnz .LBB67_78
; %bb.77:                               ;   in Loop: Header=BB67_41 Depth=1
	v_div_scale_f64 v[5:6], null, v[31:32], v[31:32], v[1:2]
	v_div_scale_f64 v[7:8], null, v[33:34], v[33:34], v[3:4]
	v_div_scale_f64 v[46:47], vcc_lo, v[1:2], v[31:32], v[1:2]
	s_delay_alu instid0(VALU_DEP_3) | instskip(NEXT) | instid1(VALU_DEP_2)
	v_rcp_f64_e32 v[35:36], v[5:6]
	v_rcp_f64_e32 v[37:38], v[7:8]
	s_delay_alu instid0(TRANS32_DEP_2) | instskip(NEXT) | instid1(TRANS32_DEP_1)
	v_fma_f64 v[41:42], -v[5:6], v[35:36], 1.0
	v_fma_f64 v[44:45], -v[7:8], v[37:38], 1.0
	s_delay_alu instid0(VALU_DEP_2) | instskip(NEXT) | instid1(VALU_DEP_2)
	v_fma_f64 v[35:36], v[35:36], v[41:42], v[35:36]
	v_fma_f64 v[37:38], v[37:38], v[44:45], v[37:38]
	s_delay_alu instid0(VALU_DEP_2) | instskip(NEXT) | instid1(VALU_DEP_2)
	v_fma_f64 v[41:42], -v[5:6], v[35:36], 1.0
	v_fma_f64 v[44:45], -v[7:8], v[37:38], 1.0
	s_delay_alu instid0(VALU_DEP_2) | instskip(SKIP_1) | instid1(VALU_DEP_3)
	v_fma_f64 v[35:36], v[35:36], v[41:42], v[35:36]
	v_div_scale_f64 v[41:42], s4, v[3:4], v[33:34], v[3:4]
	v_fma_f64 v[37:38], v[37:38], v[44:45], v[37:38]
	s_delay_alu instid0(VALU_DEP_3) | instskip(NEXT) | instid1(VALU_DEP_2)
	v_mul_f64_e32 v[44:45], v[46:47], v[35:36]
	v_mul_f64_e32 v[48:49], v[41:42], v[37:38]
	s_delay_alu instid0(VALU_DEP_2) | instskip(NEXT) | instid1(VALU_DEP_2)
	v_fma_f64 v[5:6], -v[5:6], v[44:45], v[46:47]
	v_fma_f64 v[7:8], -v[7:8], v[48:49], v[41:42]
	s_wait_alu 0xfffd
	s_delay_alu instid0(VALU_DEP_2) | instskip(SKIP_2) | instid1(VALU_DEP_2)
	v_div_fmas_f64 v[5:6], v[5:6], v[35:36], v[44:45]
	s_mov_b32 vcc_lo, s4
	s_wait_alu 0xfffe
	v_div_fmas_f64 v[7:8], v[7:8], v[37:38], v[48:49]
	s_delay_alu instid0(VALU_DEP_2) | instskip(NEXT) | instid1(VALU_DEP_2)
	v_div_fixup_f64 v[5:6], v[5:6], v[31:32], v[1:2]
	v_div_fixup_f64 v[7:8], v[7:8], v[33:34], v[3:4]
.LBB67_78:                              ;   in Loop: Header=BB67_41 Depth=1
	s_cbranch_execz .LBB67_84
.LBB67_79:                              ;   in Loop: Header=BB67_41 Depth=1
	s_and_saveexec_b32 s4, s0
	s_wait_alu 0xfffe
	s_xor_b32 s0, exec_lo, s4
	s_cbranch_execz .LBB67_85
.LBB67_80:                              ;   in Loop: Header=BB67_41 Depth=1
	v_lshlrev_b64_e32 v[1:2], 4, v[21:22]
	s_delay_alu instid0(VALU_DEP_1) | instskip(SKIP_1) | instid1(VALU_DEP_2)
	v_add_co_u32 v1, vcc_lo, s16, v1
	s_wait_alu 0xfffd
	v_add_co_ci_u32_e64 v2, null, s17, v2, vcc_lo
	global_store_b128 v[1:2], v[13:16], off
	s_wait_alu 0xfffe
	s_or_b32 exec_lo, exec_lo, s0
	s_and_saveexec_b32 s0, s1
	s_cbranch_execnz .LBB67_86
.LBB67_81:                              ;   in Loop: Header=BB67_41 Depth=1
	s_wait_alu 0xfffe
	s_or_b32 exec_lo, exec_lo, s0
	s_and_saveexec_b32 s0, s2
	s_cbranch_execz .LBB67_87
.LBB67_82:                              ;   in Loop: Header=BB67_41 Depth=1
	v_lshlrev_b64_e32 v[1:2], 4, v[25:26]
	s_delay_alu instid0(VALU_DEP_1) | instskip(SKIP_1) | instid1(VALU_DEP_2)
	v_add_co_u32 v1, vcc_lo, s16, v1
	s_wait_alu 0xfffd
	v_add_co_ci_u32_e64 v2, null, s17, v2, vcc_lo
	global_store_b128 v[1:2], v[9:12], off
	s_wait_alu 0xfffe
	s_or_b32 exec_lo, exec_lo, s0
	s_and_saveexec_b32 s0, s3
	s_cbranch_execz .LBB67_40
	s_branch .LBB67_88
.LBB67_83:                              ;   in Loop: Header=BB67_41 Depth=1
	s_wait_alu 0xfffe
	s_and_not1_b32 vcc_lo, exec_lo, s4
	s_wait_alu 0xfffe
	s_cbranch_vccnz .LBB67_79
.LBB67_84:                              ;   in Loop: Header=BB67_41 Depth=1
	v_fma_f64 v[5:6], v[1:2], v[29:30], v[3:4]
	v_fma_f64 v[1:2], v[3:4], v[29:30], -v[1:2]
	s_delay_alu instid0(VALU_DEP_2) | instskip(NEXT) | instid1(VALU_DEP_2)
	v_mul_f64_e32 v[5:6], v[5:6], v[39:40]
	v_mul_f64_e32 v[7:8], v[1:2], v[39:40]
	s_and_saveexec_b32 s4, s0
	s_wait_alu 0xfffe
	s_xor_b32 s0, exec_lo, s4
	s_cbranch_execnz .LBB67_80
.LBB67_85:                              ;   in Loop: Header=BB67_41 Depth=1
	s_wait_alu 0xfffe
	s_or_b32 exec_lo, exec_lo, s0
	s_and_saveexec_b32 s0, s1
	s_cbranch_execz .LBB67_81
.LBB67_86:                              ;   in Loop: Header=BB67_41 Depth=1
	v_lshlrev_b64_e32 v[1:2], 4, v[23:24]
	s_delay_alu instid0(VALU_DEP_1) | instskip(SKIP_1) | instid1(VALU_DEP_2)
	v_add_co_u32 v1, vcc_lo, s16, v1
	s_wait_alu 0xfffd
	v_add_co_ci_u32_e64 v2, null, s17, v2, vcc_lo
	global_store_b128 v[1:2], v[17:20], off
	s_wait_alu 0xfffe
	s_or_b32 exec_lo, exec_lo, s0
	s_and_saveexec_b32 s0, s2
	s_cbranch_execnz .LBB67_82
.LBB67_87:                              ;   in Loop: Header=BB67_41 Depth=1
	s_wait_alu 0xfffe
	s_or_b32 exec_lo, exec_lo, s0
	s_and_saveexec_b32 s0, s3
	s_cbranch_execz .LBB67_40
.LBB67_88:                              ;   in Loop: Header=BB67_41 Depth=1
	v_lshlrev_b64_e32 v[1:2], 4, v[27:28]
	s_delay_alu instid0(VALU_DEP_1) | instskip(SKIP_1) | instid1(VALU_DEP_2)
	v_add_co_u32 v1, vcc_lo, s16, v1
	s_wait_alu 0xfffd
	v_add_co_ci_u32_e64 v2, null, s17, v2, vcc_lo
	global_store_b128 v[1:2], v[5:8], off
	s_branch .LBB67_40
.LBB67_89:
	s_endpgm
	.section	.rodata,"a",@progbits
	.p2align	6, 0x0
	.amdhsa_kernel _ZN2at6native12_GLOBAL__N_125multi_tensor_apply_kernelINS1_18TensorListMetadataILi2EEENS1_27BinaryOpScalarTensorFunctorIN3c107complexIdEELi2ELi1ELi1EEEJSt7dividesIS8_EPS8_S8_EEEvT_T0_DpT1_
		.amdhsa_group_segment_fixed_size 0
		.amdhsa_private_segment_fixed_size 0
		.amdhsa_kernarg_size 3440
		.amdhsa_user_sgpr_count 2
		.amdhsa_user_sgpr_dispatch_ptr 0
		.amdhsa_user_sgpr_queue_ptr 0
		.amdhsa_user_sgpr_kernarg_segment_ptr 1
		.amdhsa_user_sgpr_dispatch_id 0
		.amdhsa_user_sgpr_private_segment_size 0
		.amdhsa_wavefront_size32 1
		.amdhsa_uses_dynamic_stack 0
		.amdhsa_enable_private_segment 0
		.amdhsa_system_sgpr_workgroup_id_x 1
		.amdhsa_system_sgpr_workgroup_id_y 0
		.amdhsa_system_sgpr_workgroup_id_z 0
		.amdhsa_system_sgpr_workgroup_info 0
		.amdhsa_system_vgpr_workitem_id 0
		.amdhsa_next_free_vgpr 56
		.amdhsa_next_free_sgpr 29
		.amdhsa_reserve_vcc 1
		.amdhsa_float_round_mode_32 0
		.amdhsa_float_round_mode_16_64 0
		.amdhsa_float_denorm_mode_32 3
		.amdhsa_float_denorm_mode_16_64 3
		.amdhsa_fp16_overflow 0
		.amdhsa_workgroup_processor_mode 1
		.amdhsa_memory_ordered 1
		.amdhsa_forward_progress 1
		.amdhsa_inst_pref_size 42
		.amdhsa_round_robin_scheduling 0
		.amdhsa_exception_fp_ieee_invalid_op 0
		.amdhsa_exception_fp_denorm_src 0
		.amdhsa_exception_fp_ieee_div_zero 0
		.amdhsa_exception_fp_ieee_overflow 0
		.amdhsa_exception_fp_ieee_underflow 0
		.amdhsa_exception_fp_ieee_inexact 0
		.amdhsa_exception_int_div_zero 0
	.end_amdhsa_kernel
	.section	.text._ZN2at6native12_GLOBAL__N_125multi_tensor_apply_kernelINS1_18TensorListMetadataILi2EEENS1_27BinaryOpScalarTensorFunctorIN3c107complexIdEELi2ELi1ELi1EEEJSt7dividesIS8_EPS8_S8_EEEvT_T0_DpT1_,"axG",@progbits,_ZN2at6native12_GLOBAL__N_125multi_tensor_apply_kernelINS1_18TensorListMetadataILi2EEENS1_27BinaryOpScalarTensorFunctorIN3c107complexIdEELi2ELi1ELi1EEEJSt7dividesIS8_EPS8_S8_EEEvT_T0_DpT1_,comdat
.Lfunc_end67:
	.size	_ZN2at6native12_GLOBAL__N_125multi_tensor_apply_kernelINS1_18TensorListMetadataILi2EEENS1_27BinaryOpScalarTensorFunctorIN3c107complexIdEELi2ELi1ELi1EEEJSt7dividesIS8_EPS8_S8_EEEvT_T0_DpT1_, .Lfunc_end67-_ZN2at6native12_GLOBAL__N_125multi_tensor_apply_kernelINS1_18TensorListMetadataILi2EEENS1_27BinaryOpScalarTensorFunctorIN3c107complexIdEELi2ELi1ELi1EEEJSt7dividesIS8_EPS8_S8_EEEvT_T0_DpT1_
                                        ; -- End function
	.set _ZN2at6native12_GLOBAL__N_125multi_tensor_apply_kernelINS1_18TensorListMetadataILi2EEENS1_27BinaryOpScalarTensorFunctorIN3c107complexIdEELi2ELi1ELi1EEEJSt7dividesIS8_EPS8_S8_EEEvT_T0_DpT1_.num_vgpr, 56
	.set _ZN2at6native12_GLOBAL__N_125multi_tensor_apply_kernelINS1_18TensorListMetadataILi2EEENS1_27BinaryOpScalarTensorFunctorIN3c107complexIdEELi2ELi1ELi1EEEJSt7dividesIS8_EPS8_S8_EEEvT_T0_DpT1_.num_agpr, 0
	.set _ZN2at6native12_GLOBAL__N_125multi_tensor_apply_kernelINS1_18TensorListMetadataILi2EEENS1_27BinaryOpScalarTensorFunctorIN3c107complexIdEELi2ELi1ELi1EEEJSt7dividesIS8_EPS8_S8_EEEvT_T0_DpT1_.numbered_sgpr, 29
	.set _ZN2at6native12_GLOBAL__N_125multi_tensor_apply_kernelINS1_18TensorListMetadataILi2EEENS1_27BinaryOpScalarTensorFunctorIN3c107complexIdEELi2ELi1ELi1EEEJSt7dividesIS8_EPS8_S8_EEEvT_T0_DpT1_.num_named_barrier, 0
	.set _ZN2at6native12_GLOBAL__N_125multi_tensor_apply_kernelINS1_18TensorListMetadataILi2EEENS1_27BinaryOpScalarTensorFunctorIN3c107complexIdEELi2ELi1ELi1EEEJSt7dividesIS8_EPS8_S8_EEEvT_T0_DpT1_.private_seg_size, 0
	.set _ZN2at6native12_GLOBAL__N_125multi_tensor_apply_kernelINS1_18TensorListMetadataILi2EEENS1_27BinaryOpScalarTensorFunctorIN3c107complexIdEELi2ELi1ELi1EEEJSt7dividesIS8_EPS8_S8_EEEvT_T0_DpT1_.uses_vcc, 1
	.set _ZN2at6native12_GLOBAL__N_125multi_tensor_apply_kernelINS1_18TensorListMetadataILi2EEENS1_27BinaryOpScalarTensorFunctorIN3c107complexIdEELi2ELi1ELi1EEEJSt7dividesIS8_EPS8_S8_EEEvT_T0_DpT1_.uses_flat_scratch, 0
	.set _ZN2at6native12_GLOBAL__N_125multi_tensor_apply_kernelINS1_18TensorListMetadataILi2EEENS1_27BinaryOpScalarTensorFunctorIN3c107complexIdEELi2ELi1ELi1EEEJSt7dividesIS8_EPS8_S8_EEEvT_T0_DpT1_.has_dyn_sized_stack, 0
	.set _ZN2at6native12_GLOBAL__N_125multi_tensor_apply_kernelINS1_18TensorListMetadataILi2EEENS1_27BinaryOpScalarTensorFunctorIN3c107complexIdEELi2ELi1ELi1EEEJSt7dividesIS8_EPS8_S8_EEEvT_T0_DpT1_.has_recursion, 0
	.set _ZN2at6native12_GLOBAL__N_125multi_tensor_apply_kernelINS1_18TensorListMetadataILi2EEENS1_27BinaryOpScalarTensorFunctorIN3c107complexIdEELi2ELi1ELi1EEEJSt7dividesIS8_EPS8_S8_EEEvT_T0_DpT1_.has_indirect_call, 0
	.section	.AMDGPU.csdata,"",@progbits
; Kernel info:
; codeLenInByte = 5292
; TotalNumSgprs: 31
; NumVgprs: 56
; ScratchSize: 0
; MemoryBound: 1
; FloatMode: 240
; IeeeMode: 1
; LDSByteSize: 0 bytes/workgroup (compile time only)
; SGPRBlocks: 0
; VGPRBlocks: 6
; NumSGPRsForWavesPerEU: 31
; NumVGPRsForWavesPerEU: 56
; Occupancy: 16
; WaveLimiterHint : 0
; COMPUTE_PGM_RSRC2:SCRATCH_EN: 0
; COMPUTE_PGM_RSRC2:USER_SGPR: 2
; COMPUTE_PGM_RSRC2:TRAP_HANDLER: 0
; COMPUTE_PGM_RSRC2:TGID_X_EN: 1
; COMPUTE_PGM_RSRC2:TGID_Y_EN: 0
; COMPUTE_PGM_RSRC2:TGID_Z_EN: 0
; COMPUTE_PGM_RSRC2:TIDIG_COMP_CNT: 0
	.section	.text._ZN2at6native12_GLOBAL__N_125multi_tensor_apply_kernelINS1_18TensorListMetadataILi2EEENS1_27BinaryOpScalarTensorFunctorIN3c107complexIfEELi2ELi1ELi1EEEJSt7dividesIS8_EPS8_S8_EEEvT_T0_DpT1_,"axG",@progbits,_ZN2at6native12_GLOBAL__N_125multi_tensor_apply_kernelINS1_18TensorListMetadataILi2EEENS1_27BinaryOpScalarTensorFunctorIN3c107complexIfEELi2ELi1ELi1EEEJSt7dividesIS8_EPS8_S8_EEEvT_T0_DpT1_,comdat
	.globl	_ZN2at6native12_GLOBAL__N_125multi_tensor_apply_kernelINS1_18TensorListMetadataILi2EEENS1_27BinaryOpScalarTensorFunctorIN3c107complexIfEELi2ELi1ELi1EEEJSt7dividesIS8_EPS8_S8_EEEvT_T0_DpT1_ ; -- Begin function _ZN2at6native12_GLOBAL__N_125multi_tensor_apply_kernelINS1_18TensorListMetadataILi2EEENS1_27BinaryOpScalarTensorFunctorIN3c107complexIfEELi2ELi1ELi1EEEJSt7dividesIS8_EPS8_S8_EEEvT_T0_DpT1_
	.p2align	8
	.type	_ZN2at6native12_GLOBAL__N_125multi_tensor_apply_kernelINS1_18TensorListMetadataILi2EEENS1_27BinaryOpScalarTensorFunctorIN3c107complexIfEELi2ELi1ELi1EEEJSt7dividesIS8_EPS8_S8_EEEvT_T0_DpT1_,@function
_ZN2at6native12_GLOBAL__N_125multi_tensor_apply_kernelINS1_18TensorListMetadataILi2EEENS1_27BinaryOpScalarTensorFunctorIN3c107complexIfEELi2ELi1ELi1EEEJSt7dividesIS8_EPS8_S8_EEEvT_T0_DpT1_: ; @_ZN2at6native12_GLOBAL__N_125multi_tensor_apply_kernelINS1_18TensorListMetadataILi2EEENS1_27BinaryOpScalarTensorFunctorIN3c107complexIfEELi2ELi1ELi1EEEJSt7dividesIS8_EPS8_S8_EEEvT_T0_DpT1_
; %bb.0:
	s_mov_b32 s2, ttmp9
	s_mov_b32 s3, 0
	s_delay_alu instid0(SALU_CYCLE_1)
	s_mul_u64 s[4:5], s[2:3], 3
	s_add_nc_u64 s[6:7], s[0:1], s[2:3]
	s_mov_b32 s19, s3
	s_add_nc_u64 s[4:5], s[6:7], s[4:5]
	s_clause 0x1
	s_load_b32 s4, s[4:5], 0x740
	s_load_u8 s2, s[0:1], ttmp9 offset:0x600
	s_wait_kmcnt 0x0
	s_ashr_i32 s5, s4, 31
	s_lshl_b32 s2, s2, 3
	s_clause 0x3
	s_load_b64 s[6:7], s[0:1], s2 offset:0x0
	s_load_b64 s[12:13], s[0:1], s2 offset:0x200
	;; [unrolled: 1-line block ×3, first 2 shown]
	s_load_b128 s[8:11], s[0:1], 0xc50
	s_lshl_b64 s[16:17], s[4:5], 19
	s_lshl_b64 s[4:5], s[4:5], 16
	s_wait_kmcnt 0x0
	s_add_nc_u64 s[6:7], s[6:7], s[16:17]
	s_add_nc_u64 s[12:13], s[12:13], s[16:17]
	s_and_b32 s16, s14, 3
	s_and_b32 s18, s12, 31
	s_mov_b32 s17, s3
	s_and_b32 s2, s6, 31
	s_or_b64 s[16:17], s[18:19], s[16:17]
	s_sub_nc_u64 s[4:5], s[14:15], s[4:5]
	s_or_b64 s[2:3], s[16:17], s[2:3]
	s_delay_alu instid0(SALU_CYCLE_1)
	s_cmp_eq_u64 s[2:3], 0
	s_mov_b32 s2, -1
	s_cbranch_scc0 .LBB68_37
; %bb.1:
	v_cmp_gt_i64_e64 s2, 0x10000, s[4:5]
	v_dual_mov_b32 v13, 0 :: v_dual_lshlrev_b32 v12, 2, v0
	s_mov_b32 s3, exec_lo
	s_and_b32 s2, s2, exec_lo
	s_cselect_b32 s15, s5, 0
	s_cselect_b32 s14, s4, 0x10000
	s_delay_alu instid0(SALU_CYCLE_1)
	v_cmpx_gt_i64_e64 s[14:15], v[12:13]
	s_cbranch_execz .LBB68_36
; %bb.2:
	s_load_b32 s2, s[0:1], 0xc6c
	v_dual_mov_b32 v1, v13 :: v_dual_lshlrev_b32 v16, 5, v0
	s_mov_b32 s17, 0
	s_mov_b64 s[18:19], s[6:7]
	s_mov_b32 s23, s17
	s_delay_alu instid0(VALU_DEP_1) | instskip(SKIP_3) | instid1(SALU_CYCLE_1)
	v_dual_mov_b32 v15, v1 :: v_dual_mov_b32 v14, v0
	s_mov_b64 s[20:21], s[12:13]
	s_wait_kmcnt 0x0
	s_and_b32 s22, s2, 0xffff
	s_lshl_b32 s16, s22, 5
	s_branch .LBB68_4
.LBB68_3:                               ;   in Loop: Header=BB68_4 Depth=1
	v_add_co_u32 v14, vcc_lo, v14, s22
	s_wait_alu 0xfffd
	v_add_co_ci_u32_e64 v15, null, 0, v15, vcc_lo
	s_add_nc_u64 s[18:19], s[18:19], s[16:17]
	s_wait_loadcnt 0x1
	v_lshlrev_b64_e32 v[1:2], 2, v[14:15]
	s_delay_alu instid0(VALU_DEP_1)
	v_cmp_le_i64_e32 vcc_lo, s[14:15], v[1:2]
	v_add_co_u32 v1, s2, s20, v16
	s_wait_alu 0xf1ff
	v_add_co_ci_u32_e64 v2, null, s21, 0, s2
	s_add_nc_u64 s[20:21], s[20:21], s[16:17]
	s_or_b32 s23, vcc_lo, s23
	s_wait_loadcnt 0x0
	s_clause 0x1
	global_store_b128 v[1:2], v[5:8], off
	global_store_b128 v[1:2], v[9:12], off offset:16
	s_wait_alu 0xfffe
	s_and_not1_b32 exec_lo, exec_lo, s23
	s_cbranch_execz .LBB68_36
.LBB68_4:                               ; =>This Inner Loop Header: Depth=1
	global_load_b64 v[5:6], v13, s[8:9]
	v_add_co_u32 v7, s2, s18, v16
	s_wait_alu 0xf1ff
	v_add_co_ci_u32_e64 v8, null, s19, 0, s2
	s_clause 0x1
	global_load_b128 v[1:4], v[7:8], off offset:16
	global_load_b128 v[7:10], v[7:8], off
	s_wait_loadcnt 0x2
	v_readfirstlane_b32 s2, v6
	v_readfirstlane_b32 s24, v5
	s_mul_f32 s25, s2, s11
	s_mul_f32 s26, s2, s10
	s_wait_alu 0xfffe
	s_delay_alu instid0(SALU_CYCLE_1) | instskip(NEXT) | instid1(SALU_CYCLE_1)
	s_xor_b32 s28, s25, 0x80000000
	s_fmac_f32 s26, s24, s11
	s_wait_alu 0xfffe
	s_fmac_f32 s28, s24, s10
	s_wait_alu 0xfffe
	s_delay_alu instid0(SALU_CYCLE_2) | instskip(SKIP_2) | instid1(VALU_DEP_3)
	v_div_scale_f32 v5, null, s28, s28, s26
	v_div_scale_f32 v11, null, s26, s26, s28
	v_div_scale_f32 v20, s2, s28, s26, s28
	v_rcp_f32_e32 v6, v5
	v_xor_b32_e32 v5, 0x80000000, v5
	s_delay_alu instid0(VALU_DEP_3)
	v_rcp_f32_e32 v12, v11
	v_xor_b32_e32 v11, 0x80000000, v11
	v_div_scale_f32 v18, vcc_lo, s26, s28, s26
	s_delay_alu instid0(TRANS32_DEP_2) | instid1(VALU_DEP_3)
	v_fma_f32 v17, v5, v6, 1.0
	s_delay_alu instid0(VALU_DEP_1)
	v_fmac_f32_e32 v6, v17, v6
	s_delay_alu instid0(TRANS32_DEP_1) | instid1(VALU_DEP_4)
	v_fma_f32 v17, v11, v12, 1.0
	s_delay_alu instid0(VALU_DEP_1) | instskip(NEXT) | instid1(VALU_DEP_1)
	v_fmac_f32_e32 v12, v17, v12
	v_mul_f32_e32 v21, v20, v12
	s_delay_alu instid0(VALU_DEP_4) | instskip(NEXT) | instid1(VALU_DEP_1)
	v_mul_f32_e32 v19, v18, v6
	v_fma_f32 v17, v5, v19, v18
	s_delay_alu instid0(VALU_DEP_1) | instskip(NEXT) | instid1(VALU_DEP_4)
	v_fmac_f32_e32 v19, v17, v6
	v_fma_f32 v17, v11, v21, v20
	s_delay_alu instid0(VALU_DEP_2) | instskip(NEXT) | instid1(VALU_DEP_2)
	v_fmac_f32_e32 v18, v5, v19
	v_fmac_f32_e32 v21, v17, v12
	s_wait_alu 0xfffd
	s_delay_alu instid0(VALU_DEP_2) | instskip(NEXT) | instid1(VALU_DEP_2)
	v_div_fmas_f32 v5, v18, v6, v19
	v_fmac_f32_e32 v20, v11, v21
	s_mov_b32 vcc_lo, s2
	s_xor_b32 s2, s28, 0x80000000
	s_cmp_lt_f32 s28, 0
	v_div_fixup_f32 v11, v5, s28, s26
	s_wait_alu 0xfffe
	v_div_fmas_f32 v5, v20, v12, v21
	s_cselect_b32 s24, s2, s28
	s_xor_b32 s2, s26, 0x80000000
	v_fma_f32 v6, s26, v11, s28
	s_delay_alu instid0(VALU_DEP_2) | instskip(SKIP_1) | instid1(VALU_DEP_2)
	v_div_fixup_f32 v17, v5, s26, s28
	s_cmp_lt_f32 s26, 0
	v_div_scale_f32 v5, null, v6, v6, 1.0
	s_delay_alu instid0(VALU_DEP_2) | instskip(SKIP_1) | instid1(VALU_DEP_3)
	v_fma_f32 v18, s28, v17, s26
	v_div_scale_f32 v22, vcc_lo, 1.0, v6, 1.0
	v_rcp_f32_e32 v12, v5
	v_xor_b32_e32 v5, 0x80000000, v5
	s_delay_alu instid0(VALU_DEP_3) | instskip(SKIP_3) | instid1(VALU_DEP_2)
	v_div_scale_f32 v19, null, v18, v18, 1.0
	s_wait_alu 0xfffe
	s_cselect_b32 s25, s2, s26
	v_div_scale_f32 v23, s2, 1.0, v18, 1.0
	v_rcp_f32_e32 v20, v19
	v_xor_b32_e32 v19, 0x80000000, v19
	s_wait_alu 0xfffe
	s_cmp_ge_f32 s24, s25
	v_fma_f32 v21, v5, v12, 1.0
	s_cselect_b32 s27, -1, 0
	s_cmp_neq_f32 s28, 0
	s_delay_alu instid0(VALU_DEP_1) | instskip(NEXT) | instid1(TRANS32_DEP_1)
	v_fmac_f32_e32 v12, v21, v12
	v_fma_f32 v21, v19, v20, 1.0
	s_cselect_b32 s28, -1, 0
	s_cmp_neq_f32 s26, 0
	s_delay_alu instid0(VALU_DEP_2) | instskip(NEXT) | instid1(VALU_DEP_2)
	v_mul_f32_e32 v24, v22, v12
	v_fmac_f32_e32 v20, v21, v20
	s_cselect_b32 s26, -1, 0
	s_delay_alu instid0(VALU_DEP_2)
	v_fma_f32 v21, v5, v24, v22
	s_wait_alu 0xfffe
	s_or_b32 s26, s28, s26
	v_mul_f32_e32 v25, v23, v20
	s_cmp_nge_f32 s24, s25
	v_fmac_f32_e32 v24, v21, v12
	s_delay_alu instid0(VALU_DEP_2) | instskip(NEXT) | instid1(VALU_DEP_2)
	v_fma_f32 v21, v19, v25, v23
	v_fmac_f32_e32 v22, v5, v24
	s_delay_alu instid0(VALU_DEP_2) | instskip(SKIP_1) | instid1(VALU_DEP_2)
	v_fmac_f32_e32 v25, v21, v20
	s_wait_alu 0xfffd
	v_div_fmas_f32 v5, v22, v12, v24
	s_mov_b32 vcc_lo, s2
	s_delay_alu instid0(VALU_DEP_2) | instskip(SKIP_1) | instid1(VALU_DEP_2)
	v_fmac_f32_e32 v23, v19, v25
	s_mov_b32 s2, -1
	v_div_fixup_f32 v12, v5, v6, 1.0
                                        ; implicit-def: $vgpr6
	s_wait_alu 0xfffe
	s_delay_alu instid0(VALU_DEP_2)
	v_div_fmas_f32 v19, v23, v20, v25
	s_cbranch_scc1 .LBB68_16
; %bb.5:                                ;   in Loop: Header=BB68_4 Depth=1
	s_and_b32 vcc_lo, exec_lo, s26
                                        ; implicit-def: $vgpr6
	s_wait_alu 0xfffe
	s_cbranch_vccz .LBB68_7
; %bb.6:                                ;   in Loop: Header=BB68_4 Depth=1
	s_wait_loadcnt 0x0
	v_fma_f32 v5, v8, v11, v7
	v_fma_f32 v6, -v7, v11, v8
	s_mov_b32 s2, 0
	s_delay_alu instid0(VALU_DEP_2) | instskip(NEXT) | instid1(VALU_DEP_2)
	v_mul_f32_e32 v5, v5, v12
	v_mul_f32_e32 v6, v6, v12
.LBB68_7:                               ;   in Loop: Header=BB68_4 Depth=1
	s_wait_alu 0xfffe
	s_and_not1_b32 vcc_lo, exec_lo, s2
	s_wait_alu 0xfffe
	s_cbranch_vccnz .LBB68_9
; %bb.8:                                ;   in Loop: Header=BB68_4 Depth=1
	s_wait_loadcnt 0x0
	v_div_scale_f32 v5, null, s24, s24, v7
	v_div_scale_f32 v6, null, s25, s25, v8
	v_div_scale_f32 v24, vcc_lo, v7, s24, v7
	s_delay_alu instid0(VALU_DEP_3) | instskip(NEXT) | instid1(VALU_DEP_2)
	v_rcp_f32_e32 v20, v5
	v_rcp_f32_e32 v21, v6
	s_delay_alu instid0(TRANS32_DEP_2) | instskip(NEXT) | instid1(TRANS32_DEP_1)
	v_fma_f32 v22, -v5, v20, 1.0
	v_fma_f32 v23, -v6, v21, 1.0
	s_delay_alu instid0(VALU_DEP_1) | instskip(SKIP_1) | instid1(VALU_DEP_2)
	v_dual_fmac_f32 v20, v22, v20 :: v_dual_fmac_f32 v21, v23, v21
	v_div_scale_f32 v22, s2, v8, s25, v8
	v_mul_f32_e32 v23, v24, v20
	s_delay_alu instid0(VALU_DEP_2) | instskip(NEXT) | instid1(VALU_DEP_2)
	v_mul_f32_e32 v25, v22, v21
	v_fma_f32 v26, -v5, v23, v24
	s_delay_alu instid0(VALU_DEP_2) | instskip(NEXT) | instid1(VALU_DEP_2)
	v_fma_f32 v27, -v6, v25, v22
	v_fmac_f32_e32 v23, v26, v20
	s_delay_alu instid0(VALU_DEP_2) | instskip(NEXT) | instid1(VALU_DEP_2)
	v_fmac_f32_e32 v25, v27, v21
	v_fma_f32 v5, -v5, v23, v24
	s_delay_alu instid0(VALU_DEP_2) | instskip(SKIP_1) | instid1(VALU_DEP_2)
	v_fma_f32 v6, -v6, v25, v22
	s_wait_alu 0xfffd
	v_div_fmas_f32 v5, v5, v20, v23
	s_mov_b32 vcc_lo, s2
	s_wait_alu 0xfffe
	v_div_fmas_f32 v6, v6, v21, v25
	s_delay_alu instid0(VALU_DEP_2) | instskip(NEXT) | instid1(VALU_DEP_2)
	v_div_fixup_f32 v5, v5, s24, v7
	v_div_fixup_f32 v6, v6, s25, v8
.LBB68_9:                               ;   in Loop: Header=BB68_4 Depth=1
	v_div_fixup_f32 v18, v19, v18, 1.0
	s_cbranch_execz .LBB68_17
.LBB68_10:                              ;   in Loop: Header=BB68_4 Depth=1
	v_cndmask_b32_e64 v19, 0, 1, s27
	s_and_not1_b32 vcc_lo, exec_lo, s27
	s_mov_b32 s2, -1
	s_wait_alu 0xfffe
	s_cbranch_vccnz .LBB68_18
.LBB68_11:                              ;   in Loop: Header=BB68_4 Depth=1
	s_and_not1_b32 vcc_lo, exec_lo, s26
	s_wait_alu 0xfffe
	s_cbranch_vccnz .LBB68_13
; %bb.12:                               ;   in Loop: Header=BB68_4 Depth=1
	s_wait_loadcnt 0x0
	v_fma_f32 v7, v10, v11, v9
	v_fma_f32 v8, -v9, v11, v10
	s_mov_b32 s2, 0
	s_delay_alu instid0(VALU_DEP_2) | instskip(NEXT) | instid1(VALU_DEP_2)
	v_mul_f32_e32 v7, v7, v12
	v_mul_f32_e32 v8, v8, v12
.LBB68_13:                              ;   in Loop: Header=BB68_4 Depth=1
	s_wait_alu 0xfffe
	s_and_not1_b32 vcc_lo, exec_lo, s2
	s_wait_alu 0xfffe
	s_cbranch_vccnz .LBB68_15
; %bb.14:                               ;   in Loop: Header=BB68_4 Depth=1
	s_wait_loadcnt 0x0
	v_div_scale_f32 v7, null, s24, s24, v9
	v_div_scale_f32 v8, null, s25, s25, v10
	v_div_scale_f32 v24, vcc_lo, v9, s24, v9
	s_delay_alu instid0(VALU_DEP_3) | instskip(NEXT) | instid1(VALU_DEP_2)
	v_rcp_f32_e32 v20, v7
	v_rcp_f32_e32 v21, v8
	s_delay_alu instid0(TRANS32_DEP_2) | instskip(NEXT) | instid1(TRANS32_DEP_1)
	v_fma_f32 v22, -v7, v20, 1.0
	v_fma_f32 v23, -v8, v21, 1.0
	s_delay_alu instid0(VALU_DEP_1) | instskip(SKIP_1) | instid1(VALU_DEP_2)
	v_dual_fmac_f32 v20, v22, v20 :: v_dual_fmac_f32 v21, v23, v21
	v_div_scale_f32 v22, s2, v10, s25, v10
	v_mul_f32_e32 v23, v24, v20
	s_delay_alu instid0(VALU_DEP_2) | instskip(NEXT) | instid1(VALU_DEP_2)
	v_mul_f32_e32 v25, v22, v21
	v_fma_f32 v26, -v7, v23, v24
	s_delay_alu instid0(VALU_DEP_2) | instskip(NEXT) | instid1(VALU_DEP_2)
	v_fma_f32 v27, -v8, v25, v22
	v_fmac_f32_e32 v23, v26, v20
	s_delay_alu instid0(VALU_DEP_2) | instskip(NEXT) | instid1(VALU_DEP_2)
	v_fmac_f32_e32 v25, v27, v21
	v_fma_f32 v7, -v7, v23, v24
	s_delay_alu instid0(VALU_DEP_2) | instskip(SKIP_1) | instid1(VALU_DEP_2)
	v_fma_f32 v8, -v8, v25, v22
	s_wait_alu 0xfffd
	v_div_fmas_f32 v7, v7, v20, v23
	s_mov_b32 vcc_lo, s2
	s_wait_alu 0xfffe
	v_div_fmas_f32 v8, v8, v21, v25
	s_delay_alu instid0(VALU_DEP_2) | instskip(NEXT) | instid1(VALU_DEP_2)
	v_div_fixup_f32 v7, v7, s24, v9
	v_div_fixup_f32 v8, v8, s25, v10
.LBB68_15:                              ;   in Loop: Header=BB68_4 Depth=1
	s_cbranch_execnz .LBB68_20
	s_branch .LBB68_19
.LBB68_16:                              ;   in Loop: Header=BB68_4 Depth=1
	s_delay_alu instid0(VALU_DEP_1)
	v_div_fixup_f32 v18, v19, v18, 1.0
	s_and_not1_b32 vcc_lo, exec_lo, s2
	s_wait_alu 0xfffe
	s_cbranch_vccnz .LBB68_10
.LBB68_17:                              ;   in Loop: Header=BB68_4 Depth=1
	s_wait_loadcnt 0x0
	v_fma_f32 v5, v7, v17, v8
	v_fma_f32 v6, v8, v17, -v7
	s_delay_alu instid0(VALU_DEP_2) | instskip(NEXT) | instid1(VALU_DEP_2)
	v_mul_f32_e32 v5, v5, v18
	v_mul_f32_e32 v6, v6, v18
	v_cndmask_b32_e64 v19, 0, 1, s27
	s_and_not1_b32 vcc_lo, exec_lo, s27
	s_mov_b32 s2, -1
	s_wait_alu 0xfffe
	s_cbranch_vccz .LBB68_11
.LBB68_18:                              ;   in Loop: Header=BB68_4 Depth=1
	s_and_not1_b32 vcc_lo, exec_lo, s2
	s_wait_alu 0xfffe
	s_cbranch_vccnz .LBB68_20
.LBB68_19:                              ;   in Loop: Header=BB68_4 Depth=1
	s_wait_loadcnt 0x0
	v_fma_f32 v7, v9, v17, v10
	v_fma_f32 v8, v10, v17, -v9
	s_delay_alu instid0(VALU_DEP_2) | instskip(NEXT) | instid1(VALU_DEP_2)
	v_mul_f32_e32 v7, v7, v18
	v_mul_f32_e32 v8, v8, v18
.LBB68_20:                              ;   in Loop: Header=BB68_4 Depth=1
	v_cmp_ne_u32_e32 vcc_lo, 1, v19
	s_mov_b32 s2, -1
                                        ; implicit-def: $vgpr10
	s_cbranch_vccnz .LBB68_32
; %bb.21:                               ;   in Loop: Header=BB68_4 Depth=1
	s_and_not1_b32 vcc_lo, exec_lo, s26
                                        ; implicit-def: $vgpr10
	s_wait_alu 0xfffe
	s_cbranch_vccnz .LBB68_23
; %bb.22:                               ;   in Loop: Header=BB68_4 Depth=1
	s_wait_loadcnt 0x0
	v_fma_f32 v9, v2, v11, v1
	v_fma_f32 v10, -v1, v11, v2
	s_mov_b32 s2, 0
	s_delay_alu instid0(VALU_DEP_2) | instskip(NEXT) | instid1(VALU_DEP_2)
	v_mul_f32_e32 v9, v9, v12
	v_mul_f32_e32 v10, v10, v12
.LBB68_23:                              ;   in Loop: Header=BB68_4 Depth=1
	s_wait_alu 0xfffe
	s_and_not1_b32 vcc_lo, exec_lo, s2
	s_wait_alu 0xfffe
	s_cbranch_vccnz .LBB68_25
; %bb.24:                               ;   in Loop: Header=BB68_4 Depth=1
	s_wait_loadcnt 0x0
	v_div_scale_f32 v9, null, s24, s24, v1
	v_div_scale_f32 v10, null, s25, s25, v2
	v_div_scale_f32 v24, vcc_lo, v1, s24, v1
	s_delay_alu instid0(VALU_DEP_3) | instskip(NEXT) | instid1(VALU_DEP_2)
	v_rcp_f32_e32 v20, v9
	v_rcp_f32_e32 v21, v10
	s_delay_alu instid0(TRANS32_DEP_2) | instskip(NEXT) | instid1(TRANS32_DEP_1)
	v_fma_f32 v22, -v9, v20, 1.0
	v_fma_f32 v23, -v10, v21, 1.0
	s_delay_alu instid0(VALU_DEP_1) | instskip(SKIP_1) | instid1(VALU_DEP_2)
	v_dual_fmac_f32 v20, v22, v20 :: v_dual_fmac_f32 v21, v23, v21
	v_div_scale_f32 v22, s2, v2, s25, v2
	v_mul_f32_e32 v23, v24, v20
	s_delay_alu instid0(VALU_DEP_2) | instskip(NEXT) | instid1(VALU_DEP_2)
	v_mul_f32_e32 v25, v22, v21
	v_fma_f32 v26, -v9, v23, v24
	s_delay_alu instid0(VALU_DEP_2) | instskip(NEXT) | instid1(VALU_DEP_2)
	v_fma_f32 v27, -v10, v25, v22
	v_fmac_f32_e32 v23, v26, v20
	s_delay_alu instid0(VALU_DEP_2) | instskip(NEXT) | instid1(VALU_DEP_2)
	v_fmac_f32_e32 v25, v27, v21
	v_fma_f32 v9, -v9, v23, v24
	s_delay_alu instid0(VALU_DEP_2) | instskip(SKIP_1) | instid1(VALU_DEP_2)
	v_fma_f32 v10, -v10, v25, v22
	s_wait_alu 0xfffd
	v_div_fmas_f32 v9, v9, v20, v23
	s_mov_b32 vcc_lo, s2
	s_wait_alu 0xfffe
	v_div_fmas_f32 v10, v10, v21, v25
	s_delay_alu instid0(VALU_DEP_2) | instskip(NEXT) | instid1(VALU_DEP_2)
	v_div_fixup_f32 v9, v9, s24, v1
	v_div_fixup_f32 v10, v10, s25, v2
.LBB68_25:                              ;   in Loop: Header=BB68_4 Depth=1
	s_cbranch_execz .LBB68_33
.LBB68_26:                              ;   in Loop: Header=BB68_4 Depth=1
	v_cmp_ne_u32_e32 vcc_lo, 1, v19
	s_mov_b32 s2, -1
	s_cbranch_vccnz .LBB68_34
.LBB68_27:                              ;   in Loop: Header=BB68_4 Depth=1
	s_and_not1_b32 vcc_lo, exec_lo, s26
	s_wait_alu 0xfffe
	s_cbranch_vccnz .LBB68_29
; %bb.28:                               ;   in Loop: Header=BB68_4 Depth=1
	s_wait_loadcnt 0x1
	v_fma_f32 v1, v4, v11, v3
	v_fma_f32 v2, -v3, v11, v4
	s_mov_b32 s2, 0
	s_delay_alu instid0(VALU_DEP_2) | instskip(NEXT) | instid1(VALU_DEP_2)
	v_mul_f32_e32 v11, v1, v12
	v_mul_f32_e32 v12, v2, v12
.LBB68_29:                              ;   in Loop: Header=BB68_4 Depth=1
	s_wait_alu 0xfffe
	s_and_not1_b32 vcc_lo, exec_lo, s2
	s_wait_alu 0xfffe
	s_cbranch_vccnz .LBB68_31
; %bb.30:                               ;   in Loop: Header=BB68_4 Depth=1
	s_wait_loadcnt 0x1
	v_div_scale_f32 v1, null, s24, s24, v3
	v_div_scale_f32 v2, null, s25, s25, v4
	v_div_scale_f32 v21, vcc_lo, v3, s24, v3
	s_delay_alu instid0(VALU_DEP_3) | instskip(NEXT) | instid1(VALU_DEP_2)
	v_rcp_f32_e32 v11, v1
	v_rcp_f32_e32 v12, v2
	s_delay_alu instid0(TRANS32_DEP_2) | instskip(NEXT) | instid1(TRANS32_DEP_1)
	v_fma_f32 v19, -v1, v11, 1.0
	v_fma_f32 v20, -v2, v12, 1.0
	s_delay_alu instid0(VALU_DEP_1) | instskip(SKIP_1) | instid1(VALU_DEP_2)
	v_dual_fmac_f32 v11, v19, v11 :: v_dual_fmac_f32 v12, v20, v12
	v_div_scale_f32 v19, s2, v4, s25, v4
	v_mul_f32_e32 v20, v21, v11
	s_delay_alu instid0(VALU_DEP_2) | instskip(NEXT) | instid1(VALU_DEP_2)
	v_mul_f32_e32 v22, v19, v12
	v_fma_f32 v23, -v1, v20, v21
	s_delay_alu instid0(VALU_DEP_2) | instskip(NEXT) | instid1(VALU_DEP_2)
	v_fma_f32 v24, -v2, v22, v19
	v_fmac_f32_e32 v20, v23, v11
	s_delay_alu instid0(VALU_DEP_2) | instskip(NEXT) | instid1(VALU_DEP_2)
	v_fmac_f32_e32 v22, v24, v12
	v_fma_f32 v1, -v1, v20, v21
	s_delay_alu instid0(VALU_DEP_2) | instskip(SKIP_1) | instid1(VALU_DEP_2)
	v_fma_f32 v2, -v2, v22, v19
	s_wait_alu 0xfffd
	v_div_fmas_f32 v1, v1, v11, v20
	s_mov_b32 vcc_lo, s2
	s_wait_alu 0xfffe
	v_div_fmas_f32 v2, v2, v12, v22
	s_delay_alu instid0(VALU_DEP_2) | instskip(NEXT) | instid1(VALU_DEP_2)
	v_div_fixup_f32 v11, v1, s24, v3
	v_div_fixup_f32 v12, v2, s25, v4
.LBB68_31:                              ;   in Loop: Header=BB68_4 Depth=1
	s_cbranch_execnz .LBB68_3
	s_branch .LBB68_35
.LBB68_32:                              ;   in Loop: Header=BB68_4 Depth=1
	s_wait_alu 0xfffe
	s_and_not1_b32 vcc_lo, exec_lo, s2
	s_wait_alu 0xfffe
	s_cbranch_vccnz .LBB68_26
.LBB68_33:                              ;   in Loop: Header=BB68_4 Depth=1
	s_wait_loadcnt 0x0
	v_fma_f32 v9, v1, v17, v2
	v_fma_f32 v1, v2, v17, -v1
	s_delay_alu instid0(VALU_DEP_2) | instskip(NEXT) | instid1(VALU_DEP_2)
	v_mul_f32_e32 v9, v9, v18
	v_mul_f32_e32 v10, v1, v18
	v_cmp_ne_u32_e32 vcc_lo, 1, v19
	s_mov_b32 s2, -1
	s_cbranch_vccz .LBB68_27
.LBB68_34:                              ;   in Loop: Header=BB68_4 Depth=1
	s_wait_alu 0xfffe
	s_and_not1_b32 vcc_lo, exec_lo, s2
	s_wait_alu 0xfffe
	s_cbranch_vccnz .LBB68_3
.LBB68_35:                              ;   in Loop: Header=BB68_4 Depth=1
	s_wait_loadcnt 0x1
	v_fma_f32 v1, v3, v17, v4
	v_fma_f32 v2, v4, v17, -v3
	s_delay_alu instid0(VALU_DEP_2) | instskip(NEXT) | instid1(VALU_DEP_2)
	v_mul_f32_e32 v11, v1, v18
	v_mul_f32_e32 v12, v2, v18
	s_branch .LBB68_3
.LBB68_36:
	s_or_b32 exec_lo, exec_lo, s3
	s_mov_b32 s2, 0
.LBB68_37:
	s_wait_alu 0xfffe
	s_and_not1_b32 vcc_lo, exec_lo, s2
	s_wait_alu 0xfffe
	s_cbranch_vccnz .LBB68_89
; %bb.38:
	v_cmp_lt_i64_e64 s2, s[4:5], 1
	s_and_b32 vcc_lo, exec_lo, s2
	s_wait_alu 0xfffe
	s_cbranch_vccnz .LBB68_89
; %bb.39:
	s_load_b32 s0, s[0:1], 0xc6c
	v_cmp_gt_i64_e64 s1, 0x10000, s[4:5]
	v_cmp_gt_u64_e64 s2, 0x10000, s[4:5]
	v_mov_b32_e32 v19, 0
	s_mov_b32 s15, 0
	s_mov_b64 s[20:21], 0
	s_and_b32 s1, s1, exec_lo
	s_cselect_b32 s17, s5, 0
	s_cselect_b32 s16, s4, 0x10000
	s_wait_kmcnt 0x0
	s_and_b32 s22, s0, 0xffff
	s_and_b32 s0, s2, exec_lo
	s_cselect_b32 s19, s5, 0
	s_cselect_b32 s18, s4, 0x10000
	s_wait_alu 0xfffe
	s_lshl_b32 s5, s22, 1
	s_mul_i32 s23, s22, 3
	s_lshl_b32 s14, s22, 2
	s_branch .LBB68_41
.LBB68_40:                              ;   in Loop: Header=BB68_41 Depth=1
	s_wait_alu 0xfffe
	s_or_b32 exec_lo, exec_lo, s0
	s_add_nc_u64 s[20:21], s[20:21], s[14:15]
	s_wait_alu 0xfffe
	v_cmp_ge_i64_e64 s0, s[20:21], s[16:17]
	s_and_b32 vcc_lo, exec_lo, s0
	s_wait_alu 0xfffe
	s_cbranch_vccnz .LBB68_89
.LBB68_41:                              ; =>This Inner Loop Header: Depth=1
	v_add_co_u32 v1, s0, s20, v0
	s_wait_alu 0xf1ff
	v_add_co_ci_u32_e64 v2, null, s21, 0, s0
	v_dual_mov_b32 v18, 0 :: v_dual_mov_b32 v17, 0
	s_delay_alu instid0(VALU_DEP_2)
	v_cmp_gt_u64_e64 s0, s[18:19], v[1:2]
	s_and_saveexec_b32 s1, s0
	s_cbranch_execz .LBB68_43
; %bb.42:                               ;   in Loop: Header=BB68_41 Depth=1
	v_lshlrev_b64_e32 v[3:4], 3, v[1:2]
	s_delay_alu instid0(VALU_DEP_1) | instskip(SKIP_1) | instid1(VALU_DEP_2)
	v_add_co_u32 v3, vcc_lo, s6, v3
	s_wait_alu 0xfffd
	v_add_co_ci_u32_e64 v4, null, s7, v4, vcc_lo
	global_load_b64 v[17:18], v[3:4], off
.LBB68_43:                              ;   in Loop: Header=BB68_41 Depth=1
	s_wait_alu 0xfffe
	s_or_b32 exec_lo, exec_lo, s1
	v_add_co_u32 v3, vcc_lo, v1, s22
	s_wait_alu 0xfffd
	v_add_co_ci_u32_e64 v4, null, 0, v2, vcc_lo
	v_dual_mov_b32 v12, 0 :: v_dual_mov_b32 v15, 0
	v_mov_b32_e32 v16, 0
	s_delay_alu instid0(VALU_DEP_3)
	v_cmp_gt_u64_e64 s1, s[18:19], v[3:4]
	s_and_saveexec_b32 s2, s1
	s_cbranch_execz .LBB68_45
; %bb.44:                               ;   in Loop: Header=BB68_41 Depth=1
	v_lshlrev_b64_e32 v[5:6], 3, v[3:4]
	s_delay_alu instid0(VALU_DEP_1) | instskip(SKIP_1) | instid1(VALU_DEP_2)
	v_add_co_u32 v5, vcc_lo, s6, v5
	s_wait_alu 0xfffd
	v_add_co_ci_u32_e64 v6, null, s7, v6, vcc_lo
	global_load_b64 v[15:16], v[5:6], off
.LBB68_45:                              ;   in Loop: Header=BB68_41 Depth=1
	s_wait_alu 0xfffe
	s_or_b32 exec_lo, exec_lo, s2
	v_add_co_u32 v5, vcc_lo, v1, s5
	s_wait_alu 0xfffd
	v_add_co_ci_u32_e64 v6, null, 0, v2, vcc_lo
	v_mov_b32_e32 v11, 0
	s_delay_alu instid0(VALU_DEP_2)
	v_cmp_gt_u64_e64 s2, s[18:19], v[5:6]
	s_and_saveexec_b32 s3, s2
	s_cbranch_execz .LBB68_47
; %bb.46:                               ;   in Loop: Header=BB68_41 Depth=1
	v_lshlrev_b64_e32 v[7:8], 3, v[5:6]
	s_delay_alu instid0(VALU_DEP_1) | instskip(SKIP_1) | instid1(VALU_DEP_2)
	v_add_co_u32 v7, vcc_lo, s6, v7
	s_wait_alu 0xfffd
	v_add_co_ci_u32_e64 v8, null, s7, v8, vcc_lo
	global_load_b64 v[11:12], v[7:8], off
.LBB68_47:                              ;   in Loop: Header=BB68_41 Depth=1
	s_wait_alu 0xfffe
	s_or_b32 exec_lo, exec_lo, s3
	v_add_co_u32 v7, vcc_lo, v1, s23
	s_wait_alu 0xfffd
	v_add_co_ci_u32_e64 v8, null, 0, v2, vcc_lo
	v_dual_mov_b32 v10, 0 :: v_dual_mov_b32 v9, 0
	s_delay_alu instid0(VALU_DEP_2)
	v_cmp_gt_u64_e64 s3, s[18:19], v[7:8]
	s_and_saveexec_b32 s4, s3
	s_cbranch_execz .LBB68_49
; %bb.48:                               ;   in Loop: Header=BB68_41 Depth=1
	v_lshlrev_b64_e32 v[9:10], 3, v[7:8]
	s_delay_alu instid0(VALU_DEP_1) | instskip(SKIP_1) | instid1(VALU_DEP_2)
	v_add_co_u32 v9, vcc_lo, s6, v9
	s_wait_alu 0xfffd
	v_add_co_ci_u32_e64 v10, null, s7, v10, vcc_lo
	global_load_b64 v[9:10], v[9:10], off
.LBB68_49:                              ;   in Loop: Header=BB68_41 Depth=1
	s_wait_alu 0xfffe
	s_or_b32 exec_lo, exec_lo, s4
	global_load_b64 v[13:14], v19, s[8:9]
	s_wait_loadcnt 0x0
	v_readfirstlane_b32 s4, v14
	v_readfirstlane_b32 s24, v13
	s_mul_f32 s25, s4, s11
	s_mul_f32 s26, s4, s10
	s_wait_alu 0xfffe
	s_delay_alu instid0(SALU_CYCLE_1) | instskip(NEXT) | instid1(SALU_CYCLE_1)
	s_xor_b32 s28, s25, 0x80000000
	s_fmac_f32 s26, s24, s11
	s_wait_alu 0xfffe
	s_fmac_f32 s28, s24, s10
	s_wait_alu 0xfffe
	s_delay_alu instid0(SALU_CYCLE_2) | instskip(SKIP_1) | instid1(VALU_DEP_2)
	v_div_scale_f32 v13, null, s28, s28, s26
	v_div_scale_f32 v21, vcc_lo, s26, s28, s26
	v_rcp_f32_e32 v14, v13
	v_xor_b32_e32 v13, 0x80000000, v13
	s_delay_alu instid0(TRANS32_DEP_1) | instid1(VALU_DEP_1)
	v_fma_f32 v20, v13, v14, 1.0
	s_delay_alu instid0(VALU_DEP_1) | instskip(NEXT) | instid1(VALU_DEP_1)
	v_fmac_f32_e32 v14, v20, v14
	v_mul_f32_e32 v20, v21, v14
	s_delay_alu instid0(VALU_DEP_1) | instskip(NEXT) | instid1(VALU_DEP_1)
	v_fma_f32 v22, v13, v20, v21
	v_fmac_f32_e32 v20, v22, v14
	s_delay_alu instid0(VALU_DEP_1) | instskip(SKIP_1) | instid1(VALU_DEP_1)
	v_fmac_f32_e32 v21, v13, v20
	s_wait_alu 0xfffd
	v_div_fmas_f32 v13, v21, v14, v20
	v_div_scale_f32 v20, null, s26, s26, s28
	s_delay_alu instid0(VALU_DEP_2) | instskip(NEXT) | instid1(VALU_DEP_2)
	v_div_fixup_f32 v21, v13, s28, s26
	v_rcp_f32_e32 v23, v20
	v_xor_b32_e32 v20, 0x80000000, v20
	s_delay_alu instid0(VALU_DEP_2) | instskip(NEXT) | instid1(VALU_DEP_1)
	v_fma_f32 v13, s26, v21, s28
	v_div_scale_f32 v14, null, v13, v13, 1.0
	s_delay_alu instid0(TRANS32_DEP_1) | instid1(VALU_DEP_3)
	v_fma_f32 v25, v20, v23, 1.0
	v_div_scale_f32 v26, vcc_lo, 1.0, v13, 1.0
	s_delay_alu instid0(VALU_DEP_3) | instskip(SKIP_1) | instid1(VALU_DEP_3)
	v_rcp_f32_e32 v22, v14
	v_xor_b32_e32 v14, 0x80000000, v14
	v_fmac_f32_e32 v23, v25, v23
	s_delay_alu instid0(TRANS32_DEP_1) | instid1(VALU_DEP_2)
	v_fma_f32 v24, v14, v22, 1.0
	s_delay_alu instid0(VALU_DEP_1) | instskip(SKIP_1) | instid1(VALU_DEP_1)
	v_fmac_f32_e32 v22, v24, v22
	v_div_scale_f32 v24, s4, s28, s26, s28
	v_mul_f32_e32 v27, v24, v23
	s_delay_alu instid0(VALU_DEP_1) | instskip(NEXT) | instid1(VALU_DEP_1)
	v_fma_f32 v29, v20, v27, v24
	v_fmac_f32_e32 v27, v29, v23
	s_delay_alu instid0(VALU_DEP_1) | instskip(NEXT) | instid1(VALU_DEP_1)
	v_dual_mul_f32 v25, v26, v22 :: v_dual_fmac_f32 v24, v20, v27
	v_fma_f32 v28, v14, v25, v26
	s_delay_alu instid0(VALU_DEP_1) | instskip(NEXT) | instid1(VALU_DEP_1)
	v_fmac_f32_e32 v25, v28, v22
	v_fmac_f32_e32 v26, v14, v25
	s_wait_alu 0xfffd
	s_delay_alu instid0(VALU_DEP_1)
	v_div_fmas_f32 v14, v26, v22, v25
	s_mov_b32 vcc_lo, s4
	s_xor_b32 s4, s28, 0x80000000
	s_wait_alu 0xfffe
	v_div_fmas_f32 v20, v24, v23, v27
	s_cmp_lt_f32 s28, 0
	s_delay_alu instid0(VALU_DEP_1) | instskip(SKIP_3) | instid1(VALU_DEP_1)
	v_div_fixup_f32 v20, v20, s26, s28
	s_cselect_b32 s24, s4, s28
	s_xor_b32 s4, s26, 0x80000000
	s_cmp_lt_f32 s26, 0
	v_fma_f32 v23, s28, v20, s26
	s_wait_alu 0xfffe
	s_cselect_b32 s25, s4, s26
	s_wait_alu 0xfffe
	s_cmp_ge_f32 s24, s25
	v_div_scale_f32 v22, null, v23, v23, 1.0
	v_div_scale_f32 v26, vcc_lo, 1.0, v23, 1.0
	s_cselect_b32 s27, -1, 0
	v_rcp_f32_e32 v24, v22
	v_xor_b32_e32 v22, 0x80000000, v22
	s_cmp_neq_f32 s28, 0
	s_cselect_b32 s4, -1, 0
	s_cmp_neq_f32 s26, 0
	s_delay_alu instid0(TRANS32_DEP_1) | instid1(VALU_DEP_1)
	v_fma_f32 v25, v22, v24, 1.0
	s_cselect_b32 s26, -1, 0
	s_wait_alu 0xfffe
	s_or_b32 s26, s4, s26
	s_mov_b32 s4, -1
	v_fmac_f32_e32 v24, v25, v24
	s_delay_alu instid0(VALU_DEP_1) | instskip(NEXT) | instid1(VALU_DEP_1)
	v_mul_f32_e32 v25, v26, v24
	v_fma_f32 v27, v22, v25, v26
	s_delay_alu instid0(VALU_DEP_1) | instskip(NEXT) | instid1(VALU_DEP_1)
	v_fmac_f32_e32 v25, v27, v24
	v_fmac_f32_e32 v26, v22, v25
	v_div_fixup_f32 v22, v14, v13, 1.0
                                        ; implicit-def: $vgpr14
	s_wait_alu 0xfffd
	s_delay_alu instid0(VALU_DEP_2)
	v_div_fmas_f32 v24, v26, v24, v25
	s_and_b32 vcc_lo, exec_lo, s27
	s_wait_alu 0xfffe
	s_cbranch_vccz .LBB68_55
; %bb.50:                               ;   in Loop: Header=BB68_41 Depth=1
	s_and_b32 vcc_lo, exec_lo, s26
                                        ; implicit-def: $vgpr14
	s_wait_alu 0xfffe
	s_cbranch_vccz .LBB68_52
; %bb.51:                               ;   in Loop: Header=BB68_41 Depth=1
	v_fma_f32 v13, v18, v21, v17
	v_fma_f32 v14, -v17, v21, v18
	s_mov_b32 s4, 0
	s_delay_alu instid0(VALU_DEP_2) | instskip(NEXT) | instid1(VALU_DEP_2)
	v_mul_f32_e32 v13, v13, v22
	v_mul_f32_e32 v14, v14, v22
.LBB68_52:                              ;   in Loop: Header=BB68_41 Depth=1
	s_wait_alu 0xfffe
	s_and_not1_b32 vcc_lo, exec_lo, s4
	s_wait_alu 0xfffe
	s_cbranch_vccnz .LBB68_54
; %bb.53:                               ;   in Loop: Header=BB68_41 Depth=1
	v_div_scale_f32 v13, null, s24, s24, v17
	v_div_scale_f32 v14, null, s25, s25, v18
	v_div_scale_f32 v29, vcc_lo, v17, s24, v17
	s_delay_alu instid0(VALU_DEP_3) | instskip(NEXT) | instid1(VALU_DEP_2)
	v_rcp_f32_e32 v25, v13
	v_rcp_f32_e32 v26, v14
	s_delay_alu instid0(TRANS32_DEP_2) | instskip(NEXT) | instid1(TRANS32_DEP_1)
	v_fma_f32 v27, -v13, v25, 1.0
	v_fma_f32 v28, -v14, v26, 1.0
	s_delay_alu instid0(VALU_DEP_1) | instskip(SKIP_1) | instid1(VALU_DEP_2)
	v_dual_fmac_f32 v25, v27, v25 :: v_dual_fmac_f32 v26, v28, v26
	v_div_scale_f32 v27, s4, v18, s25, v18
	v_mul_f32_e32 v28, v29, v25
	s_delay_alu instid0(VALU_DEP_2) | instskip(NEXT) | instid1(VALU_DEP_2)
	v_mul_f32_e32 v30, v27, v26
	v_fma_f32 v31, -v13, v28, v29
	s_delay_alu instid0(VALU_DEP_2) | instskip(NEXT) | instid1(VALU_DEP_2)
	v_fma_f32 v32, -v14, v30, v27
	v_fmac_f32_e32 v28, v31, v25
	s_delay_alu instid0(VALU_DEP_2) | instskip(NEXT) | instid1(VALU_DEP_2)
	v_fmac_f32_e32 v30, v32, v26
	v_fma_f32 v13, -v13, v28, v29
	s_delay_alu instid0(VALU_DEP_2) | instskip(SKIP_1) | instid1(VALU_DEP_2)
	v_fma_f32 v14, -v14, v30, v27
	s_wait_alu 0xfffd
	v_div_fmas_f32 v13, v13, v25, v28
	s_mov_b32 vcc_lo, s4
	s_wait_alu 0xfffe
	v_div_fmas_f32 v14, v14, v26, v30
	s_delay_alu instid0(VALU_DEP_2) | instskip(NEXT) | instid1(VALU_DEP_2)
	v_div_fixup_f32 v13, v13, s24, v17
	v_div_fixup_f32 v14, v14, s25, v18
.LBB68_54:                              ;   in Loop: Header=BB68_41 Depth=1
	v_div_fixup_f32 v23, v24, v23, 1.0
	s_cbranch_execnz .LBB68_57
	s_branch .LBB68_56
.LBB68_55:                              ;   in Loop: Header=BB68_41 Depth=1
	s_delay_alu instid0(VALU_DEP_1)
	v_div_fixup_f32 v23, v24, v23, 1.0
	s_and_not1_b32 vcc_lo, exec_lo, s4
	s_wait_alu 0xfffe
	s_cbranch_vccnz .LBB68_57
.LBB68_56:                              ;   in Loop: Header=BB68_41 Depth=1
	v_fma_f32 v13, v17, v20, v18
	v_fma_f32 v14, v18, v20, -v17
	s_delay_alu instid0(VALU_DEP_2) | instskip(NEXT) | instid1(VALU_DEP_2)
	v_mul_f32_e32 v13, v13, v23
	v_mul_f32_e32 v14, v14, v23
.LBB68_57:                              ;   in Loop: Header=BB68_41 Depth=1
	v_cndmask_b32_e64 v24, 0, 1, s27
	s_and_not1_b32 vcc_lo, exec_lo, s27
	s_mov_b32 s4, -1
                                        ; implicit-def: $vgpr18
	s_wait_alu 0xfffe
	s_cbranch_vccnz .LBB68_63
; %bb.58:                               ;   in Loop: Header=BB68_41 Depth=1
	s_and_not1_b32 vcc_lo, exec_lo, s26
                                        ; implicit-def: $vgpr18
	s_wait_alu 0xfffe
	s_cbranch_vccnz .LBB68_60
; %bb.59:                               ;   in Loop: Header=BB68_41 Depth=1
	v_fma_f32 v17, v16, v21, v15
	v_fma_f32 v18, -v15, v21, v16
	s_mov_b32 s4, 0
	s_delay_alu instid0(VALU_DEP_2) | instskip(NEXT) | instid1(VALU_DEP_2)
	v_mul_f32_e32 v17, v17, v22
	v_mul_f32_e32 v18, v18, v22
.LBB68_60:                              ;   in Loop: Header=BB68_41 Depth=1
	s_wait_alu 0xfffe
	s_and_not1_b32 vcc_lo, exec_lo, s4
	s_wait_alu 0xfffe
	s_cbranch_vccnz .LBB68_62
; %bb.61:                               ;   in Loop: Header=BB68_41 Depth=1
	v_div_scale_f32 v17, null, s24, s24, v15
	v_div_scale_f32 v18, null, s25, s25, v16
	v_div_scale_f32 v29, vcc_lo, v15, s24, v15
	s_delay_alu instid0(VALU_DEP_3) | instskip(NEXT) | instid1(VALU_DEP_2)
	v_rcp_f32_e32 v25, v17
	v_rcp_f32_e32 v26, v18
	s_delay_alu instid0(TRANS32_DEP_2) | instskip(NEXT) | instid1(TRANS32_DEP_1)
	v_fma_f32 v27, -v17, v25, 1.0
	v_fma_f32 v28, -v18, v26, 1.0
	s_delay_alu instid0(VALU_DEP_1) | instskip(SKIP_1) | instid1(VALU_DEP_2)
	v_dual_fmac_f32 v25, v27, v25 :: v_dual_fmac_f32 v26, v28, v26
	v_div_scale_f32 v27, s4, v16, s25, v16
	v_mul_f32_e32 v28, v29, v25
	s_delay_alu instid0(VALU_DEP_2) | instskip(NEXT) | instid1(VALU_DEP_2)
	v_mul_f32_e32 v30, v27, v26
	v_fma_f32 v31, -v17, v28, v29
	s_delay_alu instid0(VALU_DEP_2) | instskip(NEXT) | instid1(VALU_DEP_2)
	v_fma_f32 v32, -v18, v30, v27
	v_fmac_f32_e32 v28, v31, v25
	s_delay_alu instid0(VALU_DEP_2) | instskip(NEXT) | instid1(VALU_DEP_2)
	v_fmac_f32_e32 v30, v32, v26
	v_fma_f32 v17, -v17, v28, v29
	s_delay_alu instid0(VALU_DEP_2) | instskip(SKIP_1) | instid1(VALU_DEP_2)
	v_fma_f32 v18, -v18, v30, v27
	s_wait_alu 0xfffd
	v_div_fmas_f32 v17, v17, v25, v28
	s_mov_b32 vcc_lo, s4
	s_wait_alu 0xfffe
	v_div_fmas_f32 v18, v18, v26, v30
	s_delay_alu instid0(VALU_DEP_2) | instskip(NEXT) | instid1(VALU_DEP_2)
	v_div_fixup_f32 v17, v17, s24, v15
	v_div_fixup_f32 v18, v18, s25, v16
.LBB68_62:                              ;   in Loop: Header=BB68_41 Depth=1
	s_cbranch_execnz .LBB68_65
	s_branch .LBB68_64
.LBB68_63:                              ;   in Loop: Header=BB68_41 Depth=1
	s_and_not1_b32 vcc_lo, exec_lo, s4
	s_wait_alu 0xfffe
	s_cbranch_vccnz .LBB68_65
.LBB68_64:                              ;   in Loop: Header=BB68_41 Depth=1
	v_fma_f32 v17, v15, v20, v16
	v_fma_f32 v15, v16, v20, -v15
	s_delay_alu instid0(VALU_DEP_2) | instskip(NEXT) | instid1(VALU_DEP_2)
	v_mul_f32_e32 v17, v17, v23
	v_mul_f32_e32 v18, v15, v23
.LBB68_65:                              ;   in Loop: Header=BB68_41 Depth=1
	v_cmp_ne_u32_e32 vcc_lo, 1, v24
	s_mov_b32 s4, -1
                                        ; implicit-def: $vgpr16
	s_cbranch_vccnz .LBB68_71
; %bb.66:                               ;   in Loop: Header=BB68_41 Depth=1
	s_and_not1_b32 vcc_lo, exec_lo, s26
                                        ; implicit-def: $vgpr16
	s_wait_alu 0xfffe
	s_cbranch_vccnz .LBB68_68
; %bb.67:                               ;   in Loop: Header=BB68_41 Depth=1
	v_fma_f32 v15, v12, v21, v11
	v_fma_f32 v16, -v11, v21, v12
	s_mov_b32 s4, 0
	s_delay_alu instid0(VALU_DEP_2) | instskip(NEXT) | instid1(VALU_DEP_2)
	v_mul_f32_e32 v15, v15, v22
	v_mul_f32_e32 v16, v16, v22
.LBB68_68:                              ;   in Loop: Header=BB68_41 Depth=1
	s_wait_alu 0xfffe
	s_and_not1_b32 vcc_lo, exec_lo, s4
	s_wait_alu 0xfffe
	s_cbranch_vccnz .LBB68_70
; %bb.69:                               ;   in Loop: Header=BB68_41 Depth=1
	v_div_scale_f32 v15, null, s24, s24, v11
	v_div_scale_f32 v16, null, s25, s25, v12
	v_div_scale_f32 v29, vcc_lo, v11, s24, v11
	s_delay_alu instid0(VALU_DEP_3) | instskip(NEXT) | instid1(VALU_DEP_2)
	v_rcp_f32_e32 v25, v15
	v_rcp_f32_e32 v26, v16
	s_delay_alu instid0(TRANS32_DEP_2) | instskip(NEXT) | instid1(TRANS32_DEP_1)
	v_fma_f32 v27, -v15, v25, 1.0
	v_fma_f32 v28, -v16, v26, 1.0
	s_delay_alu instid0(VALU_DEP_1) | instskip(SKIP_1) | instid1(VALU_DEP_2)
	v_dual_fmac_f32 v25, v27, v25 :: v_dual_fmac_f32 v26, v28, v26
	v_div_scale_f32 v27, s4, v12, s25, v12
	v_mul_f32_e32 v28, v29, v25
	s_delay_alu instid0(VALU_DEP_2) | instskip(NEXT) | instid1(VALU_DEP_2)
	v_mul_f32_e32 v30, v27, v26
	v_fma_f32 v31, -v15, v28, v29
	s_delay_alu instid0(VALU_DEP_2) | instskip(NEXT) | instid1(VALU_DEP_2)
	v_fma_f32 v32, -v16, v30, v27
	v_fmac_f32_e32 v28, v31, v25
	s_delay_alu instid0(VALU_DEP_2) | instskip(NEXT) | instid1(VALU_DEP_2)
	v_fmac_f32_e32 v30, v32, v26
	v_fma_f32 v15, -v15, v28, v29
	s_delay_alu instid0(VALU_DEP_2) | instskip(SKIP_1) | instid1(VALU_DEP_2)
	v_fma_f32 v16, -v16, v30, v27
	s_wait_alu 0xfffd
	v_div_fmas_f32 v15, v15, v25, v28
	s_mov_b32 vcc_lo, s4
	s_wait_alu 0xfffe
	v_div_fmas_f32 v16, v16, v26, v30
	s_delay_alu instid0(VALU_DEP_2) | instskip(NEXT) | instid1(VALU_DEP_2)
	v_div_fixup_f32 v15, v15, s24, v11
	v_div_fixup_f32 v16, v16, s25, v12
.LBB68_70:                              ;   in Loop: Header=BB68_41 Depth=1
	s_cbranch_execnz .LBB68_73
	s_branch .LBB68_72
.LBB68_71:                              ;   in Loop: Header=BB68_41 Depth=1
	s_wait_alu 0xfffe
	s_and_not1_b32 vcc_lo, exec_lo, s4
	s_wait_alu 0xfffe
	s_cbranch_vccnz .LBB68_73
.LBB68_72:                              ;   in Loop: Header=BB68_41 Depth=1
	v_fma_f32 v15, v11, v20, v12
	v_fma_f32 v11, v12, v20, -v11
	s_delay_alu instid0(VALU_DEP_2) | instskip(NEXT) | instid1(VALU_DEP_2)
	v_mul_f32_e32 v15, v15, v23
	v_mul_f32_e32 v16, v11, v23
.LBB68_73:                              ;   in Loop: Header=BB68_41 Depth=1
	v_cmp_ne_u32_e32 vcc_lo, 1, v24
	s_mov_b32 s4, -1
                                        ; implicit-def: $vgpr12
	s_cbranch_vccnz .LBB68_83
; %bb.74:                               ;   in Loop: Header=BB68_41 Depth=1
	s_and_not1_b32 vcc_lo, exec_lo, s26
                                        ; implicit-def: $vgpr12
	s_wait_alu 0xfffe
	s_cbranch_vccnz .LBB68_76
; %bb.75:                               ;   in Loop: Header=BB68_41 Depth=1
	v_fma_f32 v11, v10, v21, v9
	v_fma_f32 v12, -v9, v21, v10
	s_mov_b32 s4, 0
	s_delay_alu instid0(VALU_DEP_2) | instskip(NEXT) | instid1(VALU_DEP_2)
	v_mul_f32_e32 v11, v11, v22
	v_mul_f32_e32 v12, v12, v22
.LBB68_76:                              ;   in Loop: Header=BB68_41 Depth=1
	s_wait_alu 0xfffe
	s_and_not1_b32 vcc_lo, exec_lo, s4
	s_wait_alu 0xfffe
	s_cbranch_vccnz .LBB68_78
; %bb.77:                               ;   in Loop: Header=BB68_41 Depth=1
	v_div_scale_f32 v11, null, s24, s24, v9
	v_div_scale_f32 v12, null, s25, s25, v10
	v_div_scale_f32 v26, vcc_lo, v9, s24, v9
	s_delay_alu instid0(VALU_DEP_3) | instskip(NEXT) | instid1(VALU_DEP_2)
	v_rcp_f32_e32 v21, v11
	v_rcp_f32_e32 v22, v12
	s_delay_alu instid0(TRANS32_DEP_2) | instskip(NEXT) | instid1(TRANS32_DEP_1)
	v_fma_f32 v24, -v11, v21, 1.0
	v_fma_f32 v25, -v12, v22, 1.0
	s_delay_alu instid0(VALU_DEP_1) | instskip(SKIP_1) | instid1(VALU_DEP_2)
	v_dual_fmac_f32 v21, v24, v21 :: v_dual_fmac_f32 v22, v25, v22
	v_div_scale_f32 v24, s4, v10, s25, v10
	v_mul_f32_e32 v25, v26, v21
	s_delay_alu instid0(VALU_DEP_2) | instskip(NEXT) | instid1(VALU_DEP_2)
	v_mul_f32_e32 v27, v24, v22
	v_fma_f32 v28, -v11, v25, v26
	s_delay_alu instid0(VALU_DEP_2) | instskip(NEXT) | instid1(VALU_DEP_2)
	v_fma_f32 v29, -v12, v27, v24
	v_fmac_f32_e32 v25, v28, v21
	s_delay_alu instid0(VALU_DEP_2) | instskip(NEXT) | instid1(VALU_DEP_2)
	v_fmac_f32_e32 v27, v29, v22
	v_fma_f32 v11, -v11, v25, v26
	s_delay_alu instid0(VALU_DEP_2) | instskip(SKIP_1) | instid1(VALU_DEP_2)
	v_fma_f32 v12, -v12, v27, v24
	s_wait_alu 0xfffd
	v_div_fmas_f32 v11, v11, v21, v25
	s_mov_b32 vcc_lo, s4
	s_wait_alu 0xfffe
	v_div_fmas_f32 v12, v12, v22, v27
	s_delay_alu instid0(VALU_DEP_2) | instskip(NEXT) | instid1(VALU_DEP_2)
	v_div_fixup_f32 v11, v11, s24, v9
	v_div_fixup_f32 v12, v12, s25, v10
.LBB68_78:                              ;   in Loop: Header=BB68_41 Depth=1
	s_cbranch_execz .LBB68_84
.LBB68_79:                              ;   in Loop: Header=BB68_41 Depth=1
	s_and_saveexec_b32 s4, s0
	s_wait_alu 0xfffe
	s_xor_b32 s0, exec_lo, s4
	s_cbranch_execz .LBB68_85
.LBB68_80:                              ;   in Loop: Header=BB68_41 Depth=1
	v_lshlrev_b64_e32 v[1:2], 3, v[1:2]
	s_delay_alu instid0(VALU_DEP_1) | instskip(SKIP_1) | instid1(VALU_DEP_2)
	v_add_co_u32 v1, vcc_lo, s12, v1
	s_wait_alu 0xfffd
	v_add_co_ci_u32_e64 v2, null, s13, v2, vcc_lo
	global_store_b64 v[1:2], v[13:14], off
	s_wait_alu 0xfffe
	s_or_b32 exec_lo, exec_lo, s0
	s_and_saveexec_b32 s0, s1
	s_cbranch_execnz .LBB68_86
.LBB68_81:                              ;   in Loop: Header=BB68_41 Depth=1
	s_wait_alu 0xfffe
	s_or_b32 exec_lo, exec_lo, s0
	s_and_saveexec_b32 s0, s2
	s_cbranch_execz .LBB68_87
.LBB68_82:                              ;   in Loop: Header=BB68_41 Depth=1
	v_lshlrev_b64_e32 v[1:2], 3, v[5:6]
	s_delay_alu instid0(VALU_DEP_1) | instskip(SKIP_1) | instid1(VALU_DEP_2)
	v_add_co_u32 v1, vcc_lo, s12, v1
	s_wait_alu 0xfffd
	v_add_co_ci_u32_e64 v2, null, s13, v2, vcc_lo
	global_store_b64 v[1:2], v[15:16], off
	s_wait_alu 0xfffe
	s_or_b32 exec_lo, exec_lo, s0
	s_and_saveexec_b32 s0, s3
	s_cbranch_execz .LBB68_40
	s_branch .LBB68_88
.LBB68_83:                              ;   in Loop: Header=BB68_41 Depth=1
	s_wait_alu 0xfffe
	s_and_not1_b32 vcc_lo, exec_lo, s4
	s_wait_alu 0xfffe
	s_cbranch_vccnz .LBB68_79
.LBB68_84:                              ;   in Loop: Header=BB68_41 Depth=1
	v_fma_f32 v11, v9, v20, v10
	v_fma_f32 v9, v10, v20, -v9
	s_delay_alu instid0(VALU_DEP_2) | instskip(NEXT) | instid1(VALU_DEP_2)
	v_mul_f32_e32 v11, v11, v23
	v_mul_f32_e32 v12, v9, v23
	s_and_saveexec_b32 s4, s0
	s_wait_alu 0xfffe
	s_xor_b32 s0, exec_lo, s4
	s_cbranch_execnz .LBB68_80
.LBB68_85:                              ;   in Loop: Header=BB68_41 Depth=1
	s_wait_alu 0xfffe
	s_or_b32 exec_lo, exec_lo, s0
	s_and_saveexec_b32 s0, s1
	s_cbranch_execz .LBB68_81
.LBB68_86:                              ;   in Loop: Header=BB68_41 Depth=1
	v_lshlrev_b64_e32 v[1:2], 3, v[3:4]
	s_delay_alu instid0(VALU_DEP_1) | instskip(SKIP_1) | instid1(VALU_DEP_2)
	v_add_co_u32 v1, vcc_lo, s12, v1
	s_wait_alu 0xfffd
	v_add_co_ci_u32_e64 v2, null, s13, v2, vcc_lo
	global_store_b64 v[1:2], v[17:18], off
	s_wait_alu 0xfffe
	s_or_b32 exec_lo, exec_lo, s0
	s_and_saveexec_b32 s0, s2
	s_cbranch_execnz .LBB68_82
.LBB68_87:                              ;   in Loop: Header=BB68_41 Depth=1
	s_wait_alu 0xfffe
	s_or_b32 exec_lo, exec_lo, s0
	s_and_saveexec_b32 s0, s3
	s_cbranch_execz .LBB68_40
.LBB68_88:                              ;   in Loop: Header=BB68_41 Depth=1
	v_lshlrev_b64_e32 v[1:2], 3, v[7:8]
	s_delay_alu instid0(VALU_DEP_1) | instskip(SKIP_1) | instid1(VALU_DEP_2)
	v_add_co_u32 v1, vcc_lo, s12, v1
	s_wait_alu 0xfffd
	v_add_co_ci_u32_e64 v2, null, s13, v2, vcc_lo
	global_store_b64 v[1:2], v[11:12], off
	s_branch .LBB68_40
.LBB68_89:
	s_endpgm
	.section	.rodata,"a",@progbits
	.p2align	6, 0x0
	.amdhsa_kernel _ZN2at6native12_GLOBAL__N_125multi_tensor_apply_kernelINS1_18TensorListMetadataILi2EEENS1_27BinaryOpScalarTensorFunctorIN3c107complexIfEELi2ELi1ELi1EEEJSt7dividesIS8_EPS8_S8_EEEvT_T0_DpT1_
		.amdhsa_group_segment_fixed_size 0
		.amdhsa_private_segment_fixed_size 0
		.amdhsa_kernarg_size 3424
		.amdhsa_user_sgpr_count 2
		.amdhsa_user_sgpr_dispatch_ptr 0
		.amdhsa_user_sgpr_queue_ptr 0
		.amdhsa_user_sgpr_kernarg_segment_ptr 1
		.amdhsa_user_sgpr_dispatch_id 0
		.amdhsa_user_sgpr_private_segment_size 0
		.amdhsa_wavefront_size32 1
		.amdhsa_uses_dynamic_stack 0
		.amdhsa_enable_private_segment 0
		.amdhsa_system_sgpr_workgroup_id_x 1
		.amdhsa_system_sgpr_workgroup_id_y 0
		.amdhsa_system_sgpr_workgroup_id_z 0
		.amdhsa_system_sgpr_workgroup_info 0
		.amdhsa_system_vgpr_workitem_id 0
		.amdhsa_next_free_vgpr 33
		.amdhsa_next_free_sgpr 29
		.amdhsa_reserve_vcc 1
		.amdhsa_float_round_mode_32 0
		.amdhsa_float_round_mode_16_64 0
		.amdhsa_float_denorm_mode_32 3
		.amdhsa_float_denorm_mode_16_64 3
		.amdhsa_fp16_overflow 0
		.amdhsa_workgroup_processor_mode 1
		.amdhsa_memory_ordered 1
		.amdhsa_forward_progress 1
		.amdhsa_inst_pref_size 40
		.amdhsa_round_robin_scheduling 0
		.amdhsa_exception_fp_ieee_invalid_op 0
		.amdhsa_exception_fp_denorm_src 0
		.amdhsa_exception_fp_ieee_div_zero 0
		.amdhsa_exception_fp_ieee_overflow 0
		.amdhsa_exception_fp_ieee_underflow 0
		.amdhsa_exception_fp_ieee_inexact 0
		.amdhsa_exception_int_div_zero 0
	.end_amdhsa_kernel
	.section	.text._ZN2at6native12_GLOBAL__N_125multi_tensor_apply_kernelINS1_18TensorListMetadataILi2EEENS1_27BinaryOpScalarTensorFunctorIN3c107complexIfEELi2ELi1ELi1EEEJSt7dividesIS8_EPS8_S8_EEEvT_T0_DpT1_,"axG",@progbits,_ZN2at6native12_GLOBAL__N_125multi_tensor_apply_kernelINS1_18TensorListMetadataILi2EEENS1_27BinaryOpScalarTensorFunctorIN3c107complexIfEELi2ELi1ELi1EEEJSt7dividesIS8_EPS8_S8_EEEvT_T0_DpT1_,comdat
.Lfunc_end68:
	.size	_ZN2at6native12_GLOBAL__N_125multi_tensor_apply_kernelINS1_18TensorListMetadataILi2EEENS1_27BinaryOpScalarTensorFunctorIN3c107complexIfEELi2ELi1ELi1EEEJSt7dividesIS8_EPS8_S8_EEEvT_T0_DpT1_, .Lfunc_end68-_ZN2at6native12_GLOBAL__N_125multi_tensor_apply_kernelINS1_18TensorListMetadataILi2EEENS1_27BinaryOpScalarTensorFunctorIN3c107complexIfEELi2ELi1ELi1EEEJSt7dividesIS8_EPS8_S8_EEEvT_T0_DpT1_
                                        ; -- End function
	.set _ZN2at6native12_GLOBAL__N_125multi_tensor_apply_kernelINS1_18TensorListMetadataILi2EEENS1_27BinaryOpScalarTensorFunctorIN3c107complexIfEELi2ELi1ELi1EEEJSt7dividesIS8_EPS8_S8_EEEvT_T0_DpT1_.num_vgpr, 33
	.set _ZN2at6native12_GLOBAL__N_125multi_tensor_apply_kernelINS1_18TensorListMetadataILi2EEENS1_27BinaryOpScalarTensorFunctorIN3c107complexIfEELi2ELi1ELi1EEEJSt7dividesIS8_EPS8_S8_EEEvT_T0_DpT1_.num_agpr, 0
	.set _ZN2at6native12_GLOBAL__N_125multi_tensor_apply_kernelINS1_18TensorListMetadataILi2EEENS1_27BinaryOpScalarTensorFunctorIN3c107complexIfEELi2ELi1ELi1EEEJSt7dividesIS8_EPS8_S8_EEEvT_T0_DpT1_.numbered_sgpr, 29
	.set _ZN2at6native12_GLOBAL__N_125multi_tensor_apply_kernelINS1_18TensorListMetadataILi2EEENS1_27BinaryOpScalarTensorFunctorIN3c107complexIfEELi2ELi1ELi1EEEJSt7dividesIS8_EPS8_S8_EEEvT_T0_DpT1_.num_named_barrier, 0
	.set _ZN2at6native12_GLOBAL__N_125multi_tensor_apply_kernelINS1_18TensorListMetadataILi2EEENS1_27BinaryOpScalarTensorFunctorIN3c107complexIfEELi2ELi1ELi1EEEJSt7dividesIS8_EPS8_S8_EEEvT_T0_DpT1_.private_seg_size, 0
	.set _ZN2at6native12_GLOBAL__N_125multi_tensor_apply_kernelINS1_18TensorListMetadataILi2EEENS1_27BinaryOpScalarTensorFunctorIN3c107complexIfEELi2ELi1ELi1EEEJSt7dividesIS8_EPS8_S8_EEEvT_T0_DpT1_.uses_vcc, 1
	.set _ZN2at6native12_GLOBAL__N_125multi_tensor_apply_kernelINS1_18TensorListMetadataILi2EEENS1_27BinaryOpScalarTensorFunctorIN3c107complexIfEELi2ELi1ELi1EEEJSt7dividesIS8_EPS8_S8_EEEvT_T0_DpT1_.uses_flat_scratch, 0
	.set _ZN2at6native12_GLOBAL__N_125multi_tensor_apply_kernelINS1_18TensorListMetadataILi2EEENS1_27BinaryOpScalarTensorFunctorIN3c107complexIfEELi2ELi1ELi1EEEJSt7dividesIS8_EPS8_S8_EEEvT_T0_DpT1_.has_dyn_sized_stack, 0
	.set _ZN2at6native12_GLOBAL__N_125multi_tensor_apply_kernelINS1_18TensorListMetadataILi2EEENS1_27BinaryOpScalarTensorFunctorIN3c107complexIfEELi2ELi1ELi1EEEJSt7dividesIS8_EPS8_S8_EEEvT_T0_DpT1_.has_recursion, 0
	.set _ZN2at6native12_GLOBAL__N_125multi_tensor_apply_kernelINS1_18TensorListMetadataILi2EEENS1_27BinaryOpScalarTensorFunctorIN3c107complexIfEELi2ELi1ELi1EEEJSt7dividesIS8_EPS8_S8_EEEvT_T0_DpT1_.has_indirect_call, 0
	.section	.AMDGPU.csdata,"",@progbits
; Kernel info:
; codeLenInByte = 5036
; TotalNumSgprs: 31
; NumVgprs: 33
; ScratchSize: 0
; MemoryBound: 0
; FloatMode: 240
; IeeeMode: 1
; LDSByteSize: 0 bytes/workgroup (compile time only)
; SGPRBlocks: 0
; VGPRBlocks: 4
; NumSGPRsForWavesPerEU: 31
; NumVGPRsForWavesPerEU: 33
; Occupancy: 16
; WaveLimiterHint : 0
; COMPUTE_PGM_RSRC2:SCRATCH_EN: 0
; COMPUTE_PGM_RSRC2:USER_SGPR: 2
; COMPUTE_PGM_RSRC2:TRAP_HANDLER: 0
; COMPUTE_PGM_RSRC2:TGID_X_EN: 1
; COMPUTE_PGM_RSRC2:TGID_Y_EN: 0
; COMPUTE_PGM_RSRC2:TGID_Z_EN: 0
; COMPUTE_PGM_RSRC2:TIDIG_COMP_CNT: 0
	.section	.text._ZN2at6native12_GLOBAL__N_125multi_tensor_apply_kernelINS1_18TensorListMetadataILi2EEENS1_27BinaryOpScalarTensorFunctorIbLi2ELi1ELi1EEEJSt7dividesIbEPbbEEEvT_T0_DpT1_,"axG",@progbits,_ZN2at6native12_GLOBAL__N_125multi_tensor_apply_kernelINS1_18TensorListMetadataILi2EEENS1_27BinaryOpScalarTensorFunctorIbLi2ELi1ELi1EEEJSt7dividesIbEPbbEEEvT_T0_DpT1_,comdat
	.globl	_ZN2at6native12_GLOBAL__N_125multi_tensor_apply_kernelINS1_18TensorListMetadataILi2EEENS1_27BinaryOpScalarTensorFunctorIbLi2ELi1ELi1EEEJSt7dividesIbEPbbEEEvT_T0_DpT1_ ; -- Begin function _ZN2at6native12_GLOBAL__N_125multi_tensor_apply_kernelINS1_18TensorListMetadataILi2EEENS1_27BinaryOpScalarTensorFunctorIbLi2ELi1ELi1EEEJSt7dividesIbEPbbEEEvT_T0_DpT1_
	.p2align	8
	.type	_ZN2at6native12_GLOBAL__N_125multi_tensor_apply_kernelINS1_18TensorListMetadataILi2EEENS1_27BinaryOpScalarTensorFunctorIbLi2ELi1ELi1EEEJSt7dividesIbEPbbEEEvT_T0_DpT1_,@function
_ZN2at6native12_GLOBAL__N_125multi_tensor_apply_kernelINS1_18TensorListMetadataILi2EEENS1_27BinaryOpScalarTensorFunctorIbLi2ELi1ELi1EEEJSt7dividesIbEPbbEEEvT_T0_DpT1_: ; @_ZN2at6native12_GLOBAL__N_125multi_tensor_apply_kernelINS1_18TensorListMetadataILi2EEENS1_27BinaryOpScalarTensorFunctorIbLi2ELi1ELi1EEEJSt7dividesIbEPbbEEEvT_T0_DpT1_
; %bb.0:
	s_load_u8 s6, s[0:1], ttmp9 offset:0x600
	s_mov_b32 s2, ttmp9
	s_mov_b32 s3, 0
	s_delay_alu instid0(SALU_CYCLE_1) | instskip(SKIP_1) | instid1(SALU_CYCLE_1)
	s_mul_u64 s[4:5], s[2:3], 3
	s_add_nc_u64 s[2:3], s[0:1], s[2:3]
	s_add_nc_u64 s[2:3], s[2:3], s[4:5]
	s_load_b32 s2, s[2:3], 0x740
	s_wait_kmcnt 0x0
	s_lshl_b32 s3, s6, 3
	s_clause 0x2
	s_load_b64 s[4:5], s[0:1], s3 offset:0x400
	s_load_b64 s[8:9], s[0:1], s3 offset:0x0
	;; [unrolled: 1-line block ×3, first 2 shown]
	s_ashr_i32 s3, s2, 31
	s_delay_alu instid0(SALU_CYCLE_1) | instskip(SKIP_4) | instid1(SALU_CYCLE_1)
	s_lshl_b64 s[12:13], s[2:3], 16
	s_wait_kmcnt 0x0
	s_sub_nc_u64 s[6:7], s[4:5], s[12:13]
	s_add_nc_u64 s[2:3], s[8:9], s[12:13]
	s_or_b32 s3, s4, s10
	s_or_b32 s2, s3, s2
	s_delay_alu instid0(SALU_CYCLE_1) | instskip(NEXT) | instid1(SALU_CYCLE_1)
	s_and_b32 s2, s2, 3
	s_cmp_eq_u32 s2, 0
	s_mov_b32 s2, -1
	s_cbranch_scc0 .LBB69_5
; %bb.1:
	v_cmp_gt_i64_e64 s2, 0x10000, s[6:7]
	v_dual_mov_b32 v3, 0 :: v_dual_lshlrev_b32 v2, 2, v0
	s_mov_b32 s3, exec_lo
	s_and_b32 s2, s2, exec_lo
	s_cselect_b32 s5, s7, 0
	s_cselect_b32 s4, s6, 0x10000
	s_delay_alu instid0(SALU_CYCLE_1)
	v_cmpx_gt_i64_e64 s[4:5], v[2:3]
	s_cbranch_execz .LBB69_4
; %bb.2:
	s_load_b32 s2, s[0:1], 0xc6c
	v_mov_b32_e32 v1, v3
	v_add_co_u32 v3, s14, s12, v2
	s_delay_alu instid0(VALU_DEP_1) | instskip(NEXT) | instid1(VALU_DEP_3)
	v_add_co_ci_u32_e64 v4, null, s13, 0, s14
	v_mov_b32_e32 v2, v1
	v_mov_b32_e32 v1, v0
	s_mov_b32 s15, 0
	s_wait_kmcnt 0x0
	s_and_b32 s14, s2, 0xffff
	s_wait_alu 0xfffe
	s_lshl_b32 s16, s14, 2
.LBB69_3:                               ; =>This Inner Loop Header: Depth=1
	v_add_co_u32 v5, vcc_lo, s8, v3
	s_wait_alu 0xfffd
	v_add_co_ci_u32_e64 v6, null, s9, v4, vcc_lo
	v_add_co_u32 v1, vcc_lo, v1, s14
	s_wait_alu 0xfffd
	v_add_co_ci_u32_e64 v2, null, 0, v2, vcc_lo
	global_load_b32 v9, v[5:6], off
	v_add_co_u32 v7, vcc_lo, s10, v3
	v_lshlrev_b64_e32 v[5:6], 2, v[1:2]
	s_wait_alu 0xfffd
	v_add_co_ci_u32_e64 v8, null, s11, v4, vcc_lo
	v_add_co_u32 v3, s2, v3, s16
	s_wait_alu 0xf1ff
	v_add_co_ci_u32_e64 v4, null, 0, v4, s2
	v_cmp_le_i64_e32 vcc_lo, s[4:5], v[5:6]
	s_or_b32 s15, vcc_lo, s15
	s_wait_loadcnt 0x0
	v_and_b32_e32 v5, 0x1010101, v9
	global_store_b32 v[7:8], v5, off
	s_wait_alu 0xfffe
	s_and_not1_b32 exec_lo, exec_lo, s15
	s_cbranch_execnz .LBB69_3
.LBB69_4:
	s_or_b32 exec_lo, exec_lo, s3
	s_mov_b32 s2, 0
.LBB69_5:
	s_wait_alu 0xfffe
	s_and_not1_b32 vcc_lo, exec_lo, s2
	s_wait_alu 0xfffe
	s_cbranch_vccnz .LBB69_25
; %bb.6:
	v_cmp_lt_i64_e64 s2, s[6:7], 1
	s_and_b32 vcc_lo, exec_lo, s2
	s_wait_alu 0xfffe
	s_cbranch_vccnz .LBB69_25
; %bb.7:
	s_load_b32 s0, s[0:1], 0xc6c
	v_cmp_gt_i64_e64 s2, 0x10000, s[6:7]
	v_cmp_gt_u64_e64 s14, 0x10000, s[6:7]
	s_mov_b32 s1, 0
	v_add_co_u32 v15, s3, s12, v0
	s_wait_alu 0xf1ff
	v_add_co_ci_u32_e64 v16, null, s13, 0, s3
	s_and_b32 s2, s2, exec_lo
	s_cselect_b32 s5, s7, 0
	s_cselect_b32 s4, s6, 0x10000
	s_mov_b32 s3, s1
	v_add_co_u32 v1, vcc_lo, s8, v15
	s_wait_alu 0xfffd
	v_add_co_ci_u32_e64 v2, null, s9, v16, vcc_lo
	v_add_co_u32 v3, vcc_lo, s10, v15
	s_wait_alu 0xfffd
	v_add_co_ci_u32_e64 v4, null, s11, v16, vcc_lo
	s_wait_kmcnt 0x0
	s_and_b32 s16, s0, 0xffff
	s_and_b32 s0, s14, exec_lo
	s_wait_alu 0xfffe
	s_mul_i32 s2, s16, 3
	s_cselect_b32 s7, s7, 0
	s_wait_alu 0xfffe
	s_add_nc_u64 s[14:15], s[12:13], s[2:3]
	s_cselect_b32 s6, s6, 0x10000
	s_lshl_b32 s0, s16, 1
	s_wait_alu 0xfffe
	v_add_co_u32 v7, s3, s14, v0
	s_wait_alu 0xf1ff
	v_add_co_ci_u32_e64 v8, null, s15, 0, s3
	s_add_nc_u64 s[12:13], s[12:13], s[0:1]
	v_add_co_u32 v5, vcc_lo, s8, v7
	s_wait_alu 0xfffe
	v_add_co_u32 v13, s3, s12, v0
	s_wait_alu 0xf1ff
	v_add_co_ci_u32_e64 v14, null, s13, 0, s3
	s_wait_alu 0xfffd
	v_add_co_ci_u32_e64 v6, null, s9, v8, vcc_lo
	v_add_co_u32 v7, vcc_lo, s10, v7
	s_wait_alu 0xfffd
	v_add_co_ci_u32_e64 v8, null, s11, v8, vcc_lo
	v_add_co_u32 v11, vcc_lo, s8, v13
	;; [unrolled: 3-line block ×4, first 2 shown]
	s_wait_alu 0xfffd
	v_add_co_ci_u32_e64 v20, null, 0, v16, vcc_lo
	v_add_co_u32 v15, s0, s0, v0
	s_delay_alu instid0(VALU_DEP_3)
	v_add_co_u32 v17, vcc_lo, s8, v19
	v_add_co_u32 v9, s2, s2, v0
	s_wait_alu 0xf1ff
	v_add_co_ci_u32_e64 v16, null, 0, 0, s0
	s_wait_alu 0xfffd
	v_add_co_ci_u32_e64 v18, null, s9, v20, vcc_lo
	v_add_co_u32 v19, vcc_lo, s10, v19
	v_add_co_u32 v21, s0, v0, s16
	v_add_co_ci_u32_e64 v10, null, 0, 0, s2
	s_wait_alu 0xfffd
	v_add_co_ci_u32_e64 v20, null, s11, v20, vcc_lo
	s_wait_alu 0xf1ff
	v_add_co_ci_u32_e64 v22, null, 0, 0, s0
	s_lshl_b32 s8, s16, 2
	s_mov_b32 s9, s1
	s_mov_b64 s[10:11], 0
	s_branch .LBB69_9
.LBB69_8:                               ;   in Loop: Header=BB69_9 Depth=1
	s_wait_alu 0xfffe
	s_or_b32 exec_lo, exec_lo, s0
	s_add_nc_u64 s[10:11], s[10:11], s[8:9]
	s_wait_alu 0xfffe
	v_cmp_ge_i64_e64 s0, s[10:11], s[4:5]
	s_and_b32 vcc_lo, exec_lo, s0
	s_wait_alu 0xfffe
	s_cbranch_vccnz .LBB69_25
.LBB69_9:                               ; =>This Inner Loop Header: Depth=1
	s_wait_alu 0xfffe
	v_add_co_u32 v23, s0, v0, s10
	s_wait_alu 0xf1ff
	v_add_co_ci_u32_e64 v24, null, 0, s11, s0
	s_delay_alu instid0(VALU_DEP_1)
	v_cmp_gt_u64_e32 vcc_lo, s[6:7], v[23:24]
	v_mov_b32_e32 v23, 0
	s_and_saveexec_b32 s1, vcc_lo
	s_cbranch_execz .LBB69_11
; %bb.10:                               ;   in Loop: Header=BB69_9 Depth=1
	v_add_co_u32 v23, s0, v1, s10
	s_wait_alu 0xf1ff
	v_add_co_ci_u32_e64 v24, null, s11, v2, s0
	global_load_u8 v23, v[23:24], off
.LBB69_11:                              ;   in Loop: Header=BB69_9 Depth=1
	s_wait_alu 0xfffe
	s_or_b32 exec_lo, exec_lo, s1
	v_add_co_u32 v24, s0, v21, s10
	s_wait_alu 0xf1ff
	v_add_co_ci_u32_e64 v25, null, s11, v22, s0
	s_delay_alu instid0(VALU_DEP_1)
	v_cmp_gt_u64_e64 s0, s[6:7], v[24:25]
	v_dual_mov_b32 v24, 0 :: v_dual_mov_b32 v25, 0
	s_and_saveexec_b32 s2, s0
	s_cbranch_execz .LBB69_13
; %bb.12:                               ;   in Loop: Header=BB69_9 Depth=1
	v_add_co_u32 v25, s1, v17, s10
	s_wait_alu 0xf1ff
	v_add_co_ci_u32_e64 v26, null, s11, v18, s1
	global_load_u8 v25, v[25:26], off
.LBB69_13:                              ;   in Loop: Header=BB69_9 Depth=1
	s_wait_alu 0xfffe
	s_or_b32 exec_lo, exec_lo, s2
	v_add_co_u32 v26, s1, v15, s10
	s_wait_alu 0xf1ff
	v_add_co_ci_u32_e64 v27, null, s11, v16, s1
	s_delay_alu instid0(VALU_DEP_1)
	v_cmp_gt_u64_e64 s1, s[6:7], v[26:27]
	s_and_saveexec_b32 s3, s1
	s_cbranch_execz .LBB69_15
; %bb.14:                               ;   in Loop: Header=BB69_9 Depth=1
	v_add_co_u32 v26, s2, v11, s10
	s_wait_alu 0xf1ff
	v_add_co_ci_u32_e64 v27, null, s11, v12, s2
	global_load_u8 v24, v[26:27], off
.LBB69_15:                              ;   in Loop: Header=BB69_9 Depth=1
	s_wait_alu 0xfffe
	s_or_b32 exec_lo, exec_lo, s3
	v_add_co_u32 v26, s2, v9, s10
	s_wait_alu 0xf1ff
	v_add_co_ci_u32_e64 v27, null, s11, v10, s2
	s_delay_alu instid0(VALU_DEP_1)
	v_cmp_gt_u64_e64 s2, s[6:7], v[26:27]
	v_mov_b32_e32 v26, 0
	s_and_saveexec_b32 s12, s2
	s_cbranch_execz .LBB69_17
; %bb.16:                               ;   in Loop: Header=BB69_9 Depth=1
	v_add_co_u32 v26, s3, v5, s10
	s_wait_alu 0xf1ff
	v_add_co_ci_u32_e64 v27, null, s11, v6, s3
	global_load_u8 v26, v[26:27], off
.LBB69_17:                              ;   in Loop: Header=BB69_9 Depth=1
	s_wait_alu 0xfffe
	s_or_b32 exec_lo, exec_lo, s12
	s_wait_loadcnt 0x0
	v_and_b32_e32 v25, 1, v25
	v_and_b32_e32 v26, 1, v26
	;; [unrolled: 1-line block ×4, first 2 shown]
	s_delay_alu instid0(VALU_DEP_4) | instskip(NEXT) | instid1(VALU_DEP_4)
	v_lshlrev_b16 v25, 8, v25
	v_lshlrev_b16 v26, 8, v26
	s_delay_alu instid0(VALU_DEP_2) | instskip(NEXT) | instid1(VALU_DEP_2)
	v_or_b32_e32 v23, v23, v25
	v_or_b32_e32 v24, v24, v26
	s_delay_alu instid0(VALU_DEP_2) | instskip(NEXT) | instid1(VALU_DEP_2)
	v_and_b32_e32 v23, 0xffff, v23
	v_lshlrev_b32_e32 v24, 16, v24
	s_delay_alu instid0(VALU_DEP_1)
	v_or_b32_e32 v23, v23, v24
	s_and_saveexec_b32 s3, vcc_lo
	s_cbranch_execnz .LBB69_21
; %bb.18:                               ;   in Loop: Header=BB69_9 Depth=1
	s_wait_alu 0xfffe
	s_or_b32 exec_lo, exec_lo, s3
	s_and_saveexec_b32 s3, s0
	s_cbranch_execnz .LBB69_22
.LBB69_19:                              ;   in Loop: Header=BB69_9 Depth=1
	s_wait_alu 0xfffe
	s_or_b32 exec_lo, exec_lo, s3
	s_and_saveexec_b32 s0, s1
	s_cbranch_execnz .LBB69_23
.LBB69_20:                              ;   in Loop: Header=BB69_9 Depth=1
	s_wait_alu 0xfffe
	s_or_b32 exec_lo, exec_lo, s0
	s_and_saveexec_b32 s0, s2
	s_cbranch_execz .LBB69_8
	s_branch .LBB69_24
.LBB69_21:                              ;   in Loop: Header=BB69_9 Depth=1
	v_add_co_u32 v24, vcc_lo, v3, s10
	s_wait_alu 0xfffd
	v_add_co_ci_u32_e64 v25, null, s11, v4, vcc_lo
	global_store_b8 v[24:25], v23, off
	s_wait_alu 0xfffe
	s_or_b32 exec_lo, exec_lo, s3
	s_and_saveexec_b32 s3, s0
	s_cbranch_execz .LBB69_19
.LBB69_22:                              ;   in Loop: Header=BB69_9 Depth=1
	v_add_co_u32 v24, vcc_lo, v19, s10
	s_wait_alu 0xfffd
	v_add_co_ci_u32_e64 v25, null, s11, v20, vcc_lo
	v_lshrrev_b32_e32 v26, 8, v23
	global_store_b8 v[24:25], v26, off
	s_wait_alu 0xfffe
	s_or_b32 exec_lo, exec_lo, s3
	s_and_saveexec_b32 s0, s1
	s_cbranch_execz .LBB69_20
.LBB69_23:                              ;   in Loop: Header=BB69_9 Depth=1
	v_add_co_u32 v24, vcc_lo, v13, s10
	s_wait_alu 0xfffd
	v_add_co_ci_u32_e64 v25, null, s11, v14, vcc_lo
	global_store_d16_hi_b8 v[24:25], v23, off
	s_wait_alu 0xfffe
	s_or_b32 exec_lo, exec_lo, s0
	s_and_saveexec_b32 s0, s2
	s_cbranch_execz .LBB69_8
.LBB69_24:                              ;   in Loop: Header=BB69_9 Depth=1
	v_add_co_u32 v24, vcc_lo, v7, s10
	s_wait_alu 0xfffd
	v_add_co_ci_u32_e64 v25, null, s11, v8, vcc_lo
	v_lshrrev_b32_e32 v23, 24, v23
	global_store_b8 v[24:25], v23, off
	s_branch .LBB69_8
.LBB69_25:
	s_endpgm
	.section	.rodata,"a",@progbits
	.p2align	6, 0x0
	.amdhsa_kernel _ZN2at6native12_GLOBAL__N_125multi_tensor_apply_kernelINS1_18TensorListMetadataILi2EEENS1_27BinaryOpScalarTensorFunctorIbLi2ELi1ELi1EEEJSt7dividesIbEPbbEEEvT_T0_DpT1_
		.amdhsa_group_segment_fixed_size 0
		.amdhsa_private_segment_fixed_size 0
		.amdhsa_kernarg_size 3424
		.amdhsa_user_sgpr_count 2
		.amdhsa_user_sgpr_dispatch_ptr 0
		.amdhsa_user_sgpr_queue_ptr 0
		.amdhsa_user_sgpr_kernarg_segment_ptr 1
		.amdhsa_user_sgpr_dispatch_id 0
		.amdhsa_user_sgpr_private_segment_size 0
		.amdhsa_wavefront_size32 1
		.amdhsa_uses_dynamic_stack 0
		.amdhsa_enable_private_segment 0
		.amdhsa_system_sgpr_workgroup_id_x 1
		.amdhsa_system_sgpr_workgroup_id_y 0
		.amdhsa_system_sgpr_workgroup_id_z 0
		.amdhsa_system_sgpr_workgroup_info 0
		.amdhsa_system_vgpr_workitem_id 0
		.amdhsa_next_free_vgpr 28
		.amdhsa_next_free_sgpr 17
		.amdhsa_reserve_vcc 1
		.amdhsa_float_round_mode_32 0
		.amdhsa_float_round_mode_16_64 0
		.amdhsa_float_denorm_mode_32 3
		.amdhsa_float_denorm_mode_16_64 3
		.amdhsa_fp16_overflow 0
		.amdhsa_workgroup_processor_mode 1
		.amdhsa_memory_ordered 1
		.amdhsa_forward_progress 1
		.amdhsa_inst_pref_size 13
		.amdhsa_round_robin_scheduling 0
		.amdhsa_exception_fp_ieee_invalid_op 0
		.amdhsa_exception_fp_denorm_src 0
		.amdhsa_exception_fp_ieee_div_zero 0
		.amdhsa_exception_fp_ieee_overflow 0
		.amdhsa_exception_fp_ieee_underflow 0
		.amdhsa_exception_fp_ieee_inexact 0
		.amdhsa_exception_int_div_zero 0
	.end_amdhsa_kernel
	.section	.text._ZN2at6native12_GLOBAL__N_125multi_tensor_apply_kernelINS1_18TensorListMetadataILi2EEENS1_27BinaryOpScalarTensorFunctorIbLi2ELi1ELi1EEEJSt7dividesIbEPbbEEEvT_T0_DpT1_,"axG",@progbits,_ZN2at6native12_GLOBAL__N_125multi_tensor_apply_kernelINS1_18TensorListMetadataILi2EEENS1_27BinaryOpScalarTensorFunctorIbLi2ELi1ELi1EEEJSt7dividesIbEPbbEEEvT_T0_DpT1_,comdat
.Lfunc_end69:
	.size	_ZN2at6native12_GLOBAL__N_125multi_tensor_apply_kernelINS1_18TensorListMetadataILi2EEENS1_27BinaryOpScalarTensorFunctorIbLi2ELi1ELi1EEEJSt7dividesIbEPbbEEEvT_T0_DpT1_, .Lfunc_end69-_ZN2at6native12_GLOBAL__N_125multi_tensor_apply_kernelINS1_18TensorListMetadataILi2EEENS1_27BinaryOpScalarTensorFunctorIbLi2ELi1ELi1EEEJSt7dividesIbEPbbEEEvT_T0_DpT1_
                                        ; -- End function
	.set _ZN2at6native12_GLOBAL__N_125multi_tensor_apply_kernelINS1_18TensorListMetadataILi2EEENS1_27BinaryOpScalarTensorFunctorIbLi2ELi1ELi1EEEJSt7dividesIbEPbbEEEvT_T0_DpT1_.num_vgpr, 28
	.set _ZN2at6native12_GLOBAL__N_125multi_tensor_apply_kernelINS1_18TensorListMetadataILi2EEENS1_27BinaryOpScalarTensorFunctorIbLi2ELi1ELi1EEEJSt7dividesIbEPbbEEEvT_T0_DpT1_.num_agpr, 0
	.set _ZN2at6native12_GLOBAL__N_125multi_tensor_apply_kernelINS1_18TensorListMetadataILi2EEENS1_27BinaryOpScalarTensorFunctorIbLi2ELi1ELi1EEEJSt7dividesIbEPbbEEEvT_T0_DpT1_.numbered_sgpr, 17
	.set _ZN2at6native12_GLOBAL__N_125multi_tensor_apply_kernelINS1_18TensorListMetadataILi2EEENS1_27BinaryOpScalarTensorFunctorIbLi2ELi1ELi1EEEJSt7dividesIbEPbbEEEvT_T0_DpT1_.num_named_barrier, 0
	.set _ZN2at6native12_GLOBAL__N_125multi_tensor_apply_kernelINS1_18TensorListMetadataILi2EEENS1_27BinaryOpScalarTensorFunctorIbLi2ELi1ELi1EEEJSt7dividesIbEPbbEEEvT_T0_DpT1_.private_seg_size, 0
	.set _ZN2at6native12_GLOBAL__N_125multi_tensor_apply_kernelINS1_18TensorListMetadataILi2EEENS1_27BinaryOpScalarTensorFunctorIbLi2ELi1ELi1EEEJSt7dividesIbEPbbEEEvT_T0_DpT1_.uses_vcc, 1
	.set _ZN2at6native12_GLOBAL__N_125multi_tensor_apply_kernelINS1_18TensorListMetadataILi2EEENS1_27BinaryOpScalarTensorFunctorIbLi2ELi1ELi1EEEJSt7dividesIbEPbbEEEvT_T0_DpT1_.uses_flat_scratch, 0
	.set _ZN2at6native12_GLOBAL__N_125multi_tensor_apply_kernelINS1_18TensorListMetadataILi2EEENS1_27BinaryOpScalarTensorFunctorIbLi2ELi1ELi1EEEJSt7dividesIbEPbbEEEvT_T0_DpT1_.has_dyn_sized_stack, 0
	.set _ZN2at6native12_GLOBAL__N_125multi_tensor_apply_kernelINS1_18TensorListMetadataILi2EEENS1_27BinaryOpScalarTensorFunctorIbLi2ELi1ELi1EEEJSt7dividesIbEPbbEEEvT_T0_DpT1_.has_recursion, 0
	.set _ZN2at6native12_GLOBAL__N_125multi_tensor_apply_kernelINS1_18TensorListMetadataILi2EEENS1_27BinaryOpScalarTensorFunctorIbLi2ELi1ELi1EEEJSt7dividesIbEPbbEEEvT_T0_DpT1_.has_indirect_call, 0
	.section	.AMDGPU.csdata,"",@progbits
; Kernel info:
; codeLenInByte = 1564
; TotalNumSgprs: 19
; NumVgprs: 28
; ScratchSize: 0
; MemoryBound: 0
; FloatMode: 240
; IeeeMode: 1
; LDSByteSize: 0 bytes/workgroup (compile time only)
; SGPRBlocks: 0
; VGPRBlocks: 3
; NumSGPRsForWavesPerEU: 19
; NumVGPRsForWavesPerEU: 28
; Occupancy: 16
; WaveLimiterHint : 0
; COMPUTE_PGM_RSRC2:SCRATCH_EN: 0
; COMPUTE_PGM_RSRC2:USER_SGPR: 2
; COMPUTE_PGM_RSRC2:TRAP_HANDLER: 0
; COMPUTE_PGM_RSRC2:TGID_X_EN: 1
; COMPUTE_PGM_RSRC2:TGID_Y_EN: 0
; COMPUTE_PGM_RSRC2:TGID_Z_EN: 0
; COMPUTE_PGM_RSRC2:TIDIG_COMP_CNT: 0
	.section	.text._ZN2at6native12_GLOBAL__N_125multi_tensor_apply_kernelINS1_18TensorListMetadataILi2EEENS1_27BinaryOpScalarTensorFunctorIN3c104HalfELi2ELi1ELi1EEEJSt7dividesIfEPS7_fEEEvT_T0_DpT1_,"axG",@progbits,_ZN2at6native12_GLOBAL__N_125multi_tensor_apply_kernelINS1_18TensorListMetadataILi2EEENS1_27BinaryOpScalarTensorFunctorIN3c104HalfELi2ELi1ELi1EEEJSt7dividesIfEPS7_fEEEvT_T0_DpT1_,comdat
	.globl	_ZN2at6native12_GLOBAL__N_125multi_tensor_apply_kernelINS1_18TensorListMetadataILi2EEENS1_27BinaryOpScalarTensorFunctorIN3c104HalfELi2ELi1ELi1EEEJSt7dividesIfEPS7_fEEEvT_T0_DpT1_ ; -- Begin function _ZN2at6native12_GLOBAL__N_125multi_tensor_apply_kernelINS1_18TensorListMetadataILi2EEENS1_27BinaryOpScalarTensorFunctorIN3c104HalfELi2ELi1ELi1EEEJSt7dividesIfEPS7_fEEEvT_T0_DpT1_
	.p2align	8
	.type	_ZN2at6native12_GLOBAL__N_125multi_tensor_apply_kernelINS1_18TensorListMetadataILi2EEENS1_27BinaryOpScalarTensorFunctorIN3c104HalfELi2ELi1ELi1EEEJSt7dividesIfEPS7_fEEEvT_T0_DpT1_,@function
_ZN2at6native12_GLOBAL__N_125multi_tensor_apply_kernelINS1_18TensorListMetadataILi2EEENS1_27BinaryOpScalarTensorFunctorIN3c104HalfELi2ELi1ELi1EEEJSt7dividesIfEPS7_fEEEvT_T0_DpT1_: ; @_ZN2at6native12_GLOBAL__N_125multi_tensor_apply_kernelINS1_18TensorListMetadataILi2EEENS1_27BinaryOpScalarTensorFunctorIN3c104HalfELi2ELi1ELi1EEEJSt7dividesIfEPS7_fEEEvT_T0_DpT1_
; %bb.0:
	s_mov_b32 s2, ttmp9
	s_mov_b32 s3, 0
	s_delay_alu instid0(SALU_CYCLE_1)
	s_mul_u64 s[4:5], s[2:3], 3
	s_add_nc_u64 s[6:7], s[0:1], s[2:3]
	s_mov_b32 s19, s3
	s_add_nc_u64 s[4:5], s[6:7], s[4:5]
	s_clause 0x1
	s_load_b32 s4, s[4:5], 0x740
	s_load_u8 s2, s[0:1], ttmp9 offset:0x600
	s_mov_b32 s21, s3
	s_wait_kmcnt 0x0
	s_ashr_i32 s5, s4, 31
	s_lshl_b32 s2, s2, 3
	s_clause 0x3
	s_load_b64 s[12:13], s[0:1], s2 offset:0x0
	s_load_b64 s[14:15], s[0:1], s2 offset:0x200
	;; [unrolled: 1-line block ×3, first 2 shown]
	s_load_b96 s[8:10], s[0:1], 0xc50
	s_lshl_b64 s[6:7], s[4:5], 17
	s_lshl_b64 s[4:5], s[4:5], 16
	s_wait_kmcnt 0x0
	s_add_nc_u64 s[22:23], s[12:13], s[6:7]
	s_and_b32 s18, s14, 7
	s_and_b32 s20, s16, 3
	;; [unrolled: 1-line block ×3, first 2 shown]
	s_or_b64 s[18:19], s[18:19], s[20:21]
	s_sub_nc_u64 s[16:17], s[16:17], s[4:5]
	s_or_b64 s[2:3], s[18:19], s[2:3]
	s_delay_alu instid0(SALU_CYCLE_1)
	s_cmp_eq_u64 s[2:3], 0
	s_mov_b32 s2, -1
	s_cbranch_scc0 .LBB70_5
; %bb.1:
	v_cmp_gt_i64_e64 s2, 0x10000, s[16:17]
	v_dual_mov_b32 v2, 0 :: v_dual_lshlrev_b32 v1, 2, v0
	s_mov_b32 s5, exec_lo
	s_and_b32 s2, s2, exec_lo
	s_cselect_b32 s19, s17, 0
	s_cselect_b32 s18, s16, 0x10000
	s_delay_alu instid0(SALU_CYCLE_1)
	v_cmpx_gt_i64_e64 s[18:19], v[1:2]
	s_cbranch_execz .LBB70_4
; %bb.2:
	s_load_b32 s2, s[0:1], 0xc6c
	v_lshlrev_b32_e32 v3, 3, v0
	v_mov_b32_e32 v1, v2
	s_mov_b32 s20, 0
	s_delay_alu instid0(VALU_DEP_2) | instskip(NEXT) | instid1(VALU_DEP_1)
	v_add_co_u32 v5, s3, s6, v3
	v_add_co_ci_u32_e64 v6, null, s7, 0, s3
	s_delay_alu instid0(VALU_DEP_3) | instskip(SKIP_2) | instid1(SALU_CYCLE_1)
	v_dual_mov_b32 v4, v1 :: v_dual_mov_b32 v3, v0
	s_wait_kmcnt 0x0
	s_and_b32 s11, s2, 0xffff
	s_lshl_b32 s21, s11, 3
.LBB70_3:                               ; =>This Inner Loop Header: Depth=1
	v_add_co_u32 v7, vcc_lo, s12, v5
	global_load_u16 v1, v2, s[8:9]
	s_wait_alu 0xfffd
	v_add_co_ci_u32_e64 v8, null, s13, v6, vcc_lo
	v_add_co_u32 v3, vcc_lo, v3, s11
	s_wait_alu 0xfffd
	v_add_co_ci_u32_e64 v4, null, 0, v4, vcc_lo
	global_load_b64 v[7:8], v[7:8], off
	v_add_co_u32 v9, vcc_lo, s14, v5
	s_wait_alu 0xfffd
	v_add_co_ci_u32_e64 v10, null, s15, v6, vcc_lo
	v_lshlrev_b64_e32 v[11:12], 2, v[3:4]
	s_wait_loadcnt 0x1
	v_cvt_f32_f16_e32 v1, v1
	s_delay_alu instid0(VALU_DEP_1)
	v_mul_f32_e32 v1, s10, v1
	s_wait_loadcnt 0x0
	v_lshrrev_b32_e32 v14, 16, v8
	v_cvt_f32_f16_e32 v8, v8
	v_cvt_f32_f16_e32 v13, v7
	v_lshrrev_b32_e32 v7, 16, v7
	s_delay_alu instid0(VALU_DEP_4) | instskip(NEXT) | instid1(VALU_DEP_4)
	v_cvt_f32_f16_e32 v14, v14
	v_div_scale_f32 v17, null, v1, v1, v8
	s_delay_alu instid0(VALU_DEP_3) | instskip(NEXT) | instid1(VALU_DEP_2)
	v_cvt_f32_f16_e32 v7, v7
	v_rcp_f32_e32 v22, v17
	s_delay_alu instid0(TRANS32_DEP_1) | instskip(NEXT) | instid1(VALU_DEP_1)
	v_fma_f32 v28, -v17, v22, 1.0
	v_fmac_f32_e32 v22, v28, v22
	v_div_scale_f32 v15, null, v1, v1, v13
	v_div_scale_f32 v23, null, v1, v1, v14
	;; [unrolled: 1-line block ×3, first 2 shown]
	s_delay_alu instid0(VALU_DEP_3) | instskip(NEXT) | instid1(VALU_DEP_2)
	v_rcp_f32_e32 v19, v15
	v_rcp_f32_e32 v26, v23
	v_div_scale_f32 v24, s4, v14, v1, v14
	s_delay_alu instid0(VALU_DEP_2) | instskip(SKIP_3) | instid1(TRANS32_DEP_3)
	v_rcp_f32_e32 v25, v20
	v_div_scale_f32 v21, s3, v7, v1, v7
	v_div_scale_f32 v16, vcc_lo, v13, v1, v13
	v_div_scale_f32 v18, s2, v8, v1, v8
	v_fma_f32 v27, -v15, v19, 1.0
	s_delay_alu instid0(TRANS32_DEP_1) | instskip(NEXT) | instid1(VALU_DEP_2)
	v_fma_f32 v29, -v20, v25, 1.0
	v_fmac_f32_e32 v19, v27, v19
	s_delay_alu instid0(TRANS32_DEP_2) | instskip(NEXT) | instid1(VALU_DEP_1)
	v_fma_f32 v27, -v23, v26, 1.0
	v_fmac_f32_e32 v26, v27, v26
	s_delay_alu instid0(VALU_DEP_1) | instskip(NEXT) | instid1(VALU_DEP_4)
	v_dual_mul_f32 v32, v24, v26 :: v_dual_fmac_f32 v25, v29, v25
	v_dual_mul_f32 v28, v16, v19 :: v_dual_mul_f32 v29, v18, v22
	s_delay_alu instid0(VALU_DEP_2) | instskip(NEXT) | instid1(VALU_DEP_2)
	v_mul_f32_e32 v27, v21, v25
	v_fma_f32 v30, -v15, v28, v16
	s_delay_alu instid0(VALU_DEP_3) | instskip(NEXT) | instid1(VALU_DEP_3)
	v_fma_f32 v31, -v17, v29, v18
	v_fma_f32 v33, -v20, v27, v21
	s_delay_alu instid0(VALU_DEP_2) | instskip(SKIP_1) | instid1(VALU_DEP_3)
	v_dual_fmac_f32 v28, v30, v19 :: v_dual_fmac_f32 v29, v31, v22
	v_fma_f32 v30, -v23, v32, v24
	v_fmac_f32_e32 v27, v33, v25
	s_delay_alu instid0(VALU_DEP_3) | instskip(NEXT) | instid1(VALU_DEP_4)
	v_fma_f32 v15, -v15, v28, v16
	v_fma_f32 v16, -v17, v29, v18
	s_delay_alu instid0(VALU_DEP_4) | instskip(NEXT) | instid1(VALU_DEP_4)
	v_fmac_f32_e32 v32, v30, v26
	v_fma_f32 v17, -v20, v27, v21
	s_wait_alu 0xfffd
	v_div_fmas_f32 v15, v15, v19, v28
	s_mov_b32 vcc_lo, s3
	v_fma_f32 v18, -v23, v32, v24
	s_wait_alu 0xfffe
	v_div_fmas_f32 v17, v17, v25, v27
	s_mov_b32 vcc_lo, s2
	v_div_fixup_f32 v13, v15, v1, v13
	s_wait_alu 0xfffe
	v_div_fmas_f32 v16, v16, v22, v29
	s_mov_b32 vcc_lo, s4
	v_div_fixup_f32 v7, v17, v1, v7
	s_wait_alu 0xfffe
	v_div_fmas_f32 v18, v18, v26, v32
	v_cvt_f16_f32_e32 v13, v13
	v_div_fixup_f32 v8, v16, v1, v8
	v_cmp_le_i64_e64 s2, s[18:19], v[11:12]
	v_cvt_f16_f32_e32 v7, v7
	v_div_fixup_f32 v1, v18, v1, v14
	v_add_co_u32 v5, vcc_lo, v5, s21
	v_cvt_f16_f32_e32 v8, v8
	s_delay_alu instid0(VALU_DEP_4) | instskip(NEXT) | instid1(VALU_DEP_4)
	v_pack_b32_f16 v7, v13, v7
	v_cvt_f16_f32_e32 v1, v1
	s_wait_alu 0xfffd
	v_add_co_ci_u32_e64 v6, null, 0, v6, vcc_lo
	s_or_b32 s20, s2, s20
	v_pack_b32_f16 v8, v8, v1
	global_store_b64 v[9:10], v[7:8], off
	s_wait_alu 0xfffe
	s_and_not1_b32 exec_lo, exec_lo, s20
	s_cbranch_execnz .LBB70_3
.LBB70_4:
	s_or_b32 exec_lo, exec_lo, s5
	s_mov_b32 s2, 0
.LBB70_5:
	s_wait_alu 0xfffe
	s_and_not1_b32 vcc_lo, exec_lo, s2
	s_wait_alu 0xfffe
	s_cbranch_vccnz .LBB70_25
; %bb.6:
	v_cmp_lt_i64_e64 s2, s[16:17], 1
	s_and_b32 vcc_lo, exec_lo, s2
	s_wait_alu 0xfffe
	s_cbranch_vccnz .LBB70_25
; %bb.7:
	s_load_b32 s0, s[0:1], 0xc6c
	v_cmp_gt_i64_e64 s1, 0x10000, s[16:17]
	v_dual_mov_b32 v2, 0 :: v_dual_lshlrev_b32 v1, 1, v0
	v_cmp_gt_u64_e64 s2, 0x10000, s[16:17]
	s_mov_b32 s19, 0
	s_and_b32 s1, s1, exec_lo
	v_add_co_u32 v3, s3, s12, v1
	s_cselect_b32 s5, s17, 0
	s_cselect_b32 s4, s16, 0x10000
	v_add_co_ci_u32_e64 v4, null, s13, 0, s3
	v_add_co_u32 v5, s3, s14, v1
	s_wait_alu 0xf1ff
	v_add_co_ci_u32_e64 v6, null, s15, 0, s3
	s_wait_kmcnt 0x0
	s_and_b32 s0, s0, 0xffff
	s_and_b32 s1, s2, exec_lo
	s_cselect_b32 s17, s17, 0
	s_cselect_b32 s16, s16, 0x10000
	s_mul_i32 s2, s0, 3
	s_lshl_b32 s18, s0, 2
	v_mad_co_u64_u32 v[9:10], null, s0, 6, v[1:2]
	s_wait_alu 0xfffe
	v_add_co_u32 v15, s3, s18, v1
	v_add_co_u32 v1, s2, s2, v0
	s_wait_alu 0xf1ff
	v_add_co_ci_u32_e64 v11, null, 0, 0, s2
	v_add_co_u32 v14, s2, v0, s0
	s_lshl_b32 s1, s0, 1
	v_add_co_u32 v7, vcc_lo, s12, v9
	v_lshlrev_b32_e32 v22, 1, v14
	v_add_co_ci_u32_e64 v16, null, 0, 0, s3
	s_wait_alu 0xfffd
	v_add_co_ci_u32_e64 v8, null, s13, v10, vcc_lo
	v_add_co_u32 v9, vcc_lo, s14, v9
	s_wait_alu 0xfffe
	v_add_co_u32 v18, s1, s1, v0
	s_wait_alu 0xfffd
	v_add_co_ci_u32_e64 v10, null, s15, v10, vcc_lo
	v_add_co_u32 v12, vcc_lo, s12, v15
	s_wait_alu 0xf1ff
	v_add_co_ci_u32_e64 v19, null, 0, 0, s1
	v_add_co_u32 v20, s1, s12, v22
	s_wait_alu 0xfffd
	v_add_co_ci_u32_e64 v13, null, s13, v16, vcc_lo
	v_add_co_u32 v15, vcc_lo, s14, v15
	s_wait_alu 0xf1ff
	v_add_co_ci_u32_e64 v21, null, s13, 0, s1
	v_add_co_u32 v22, s1, s14, v22
	s_wait_alu 0xfffd
	v_add_co_ci_u32_e64 v16, null, s15, v16, vcc_lo
	v_add_co_ci_u32_e64 v17, null, 0, 0, s2
	s_wait_alu 0xf1ff
	v_add_co_ci_u32_e64 v23, null, s15, 0, s1
	s_lshl_b32 s11, s0, 3
	s_mov_b64 s[12:13], 0
	s_branch .LBB70_9
.LBB70_8:                               ;   in Loop: Header=BB70_9 Depth=1
	s_wait_alu 0xfffe
	s_or_b32 exec_lo, exec_lo, s1
	v_add_co_u32 v3, vcc_lo, v3, s11
	s_wait_alu 0xfffd
	v_add_co_ci_u32_e64 v4, null, 0, v4, vcc_lo
	v_add_co_u32 v5, vcc_lo, v5, s11
	s_wait_alu 0xfffd
	v_add_co_ci_u32_e64 v6, null, 0, v6, vcc_lo
	;; [unrolled: 3-line block ×5, first 2 shown]
	v_add_co_u32 v15, vcc_lo, v15, s11
	s_add_nc_u64 s[12:13], s[12:13], s[18:19]
	s_wait_alu 0xfffd
	v_add_co_ci_u32_e64 v16, null, 0, v16, vcc_lo
	v_add_co_u32 v20, vcc_lo, v20, s11
	s_wait_alu 0xfffe
	v_cmp_ge_i64_e64 s0, s[12:13], s[4:5]
	s_wait_alu 0xfffd
	v_add_co_ci_u32_e64 v21, null, 0, v21, vcc_lo
	v_add_co_u32 v22, vcc_lo, v22, s11
	s_wait_alu 0xfffd
	v_add_co_ci_u32_e64 v23, null, 0, v23, vcc_lo
	s_and_b32 vcc_lo, exec_lo, s0
	s_wait_alu 0xfffe
	s_cbranch_vccnz .LBB70_25
.LBB70_9:                               ; =>This Inner Loop Header: Depth=1
	s_wait_alu 0xfffe
	v_add_co_u32 v24, s0, v0, s12
	s_wait_alu 0xf1ff
	v_add_co_ci_u32_e64 v25, null, 0, s13, s0
	v_mov_b32_e32 v28, 0
	s_delay_alu instid0(VALU_DEP_2)
	v_cmp_gt_u64_e32 vcc_lo, s[16:17], v[24:25]
	s_and_saveexec_b32 s1, vcc_lo
	s_cbranch_execz .LBB70_11
; %bb.10:                               ;   in Loop: Header=BB70_9 Depth=1
	v_add_co_u32 v24, s0, v3, s6
	s_wait_alu 0xf1ff
	v_add_co_ci_u32_e64 v25, null, s7, v4, s0
	global_load_u16 v24, v[24:25], off
	s_wait_loadcnt 0x0
	v_cvt_f32_f16_e32 v28, v24
.LBB70_11:                              ;   in Loop: Header=BB70_9 Depth=1
	s_wait_alu 0xfffe
	s_or_b32 exec_lo, exec_lo, s1
	v_add_co_u32 v24, s0, v14, s12
	s_wait_alu 0xf1ff
	v_add_co_ci_u32_e64 v25, null, s13, v17, s0
	v_mov_b32_e32 v27, 0
	s_delay_alu instid0(VALU_DEP_2)
	v_cmp_gt_u64_e64 s2, s[16:17], v[24:25]
	v_mov_b32_e32 v24, 0
	s_and_saveexec_b32 s1, s2
	s_cbranch_execz .LBB70_13
; %bb.12:                               ;   in Loop: Header=BB70_9 Depth=1
	v_add_co_u32 v25, s0, v20, s6
	s_wait_alu 0xf1ff
	v_add_co_ci_u32_e64 v26, null, s7, v21, s0
	global_load_u16 v25, v[25:26], off
	s_wait_loadcnt 0x0
	v_cvt_f32_f16_e32 v27, v25
.LBB70_13:                              ;   in Loop: Header=BB70_9 Depth=1
	s_wait_alu 0xfffe
	s_or_b32 exec_lo, exec_lo, s1
	v_add_co_u32 v25, s0, v18, s12
	s_wait_alu 0xf1ff
	v_add_co_ci_u32_e64 v26, null, s13, v19, s0
	s_delay_alu instid0(VALU_DEP_1)
	v_cmp_gt_u64_e64 s1, s[16:17], v[25:26]
	s_and_saveexec_b32 s3, s1
	s_cbranch_execz .LBB70_15
; %bb.14:                               ;   in Loop: Header=BB70_9 Depth=1
	v_add_co_u32 v24, s0, v12, s6
	s_wait_alu 0xf1ff
	v_add_co_ci_u32_e64 v25, null, s7, v13, s0
	global_load_u16 v24, v[24:25], off
	s_wait_loadcnt 0x0
	v_cvt_f32_f16_e32 v24, v24
.LBB70_15:                              ;   in Loop: Header=BB70_9 Depth=1
	s_wait_alu 0xfffe
	s_or_b32 exec_lo, exec_lo, s3
	v_add_co_u32 v25, s0, v1, s12
	s_wait_alu 0xf1ff
	v_add_co_ci_u32_e64 v26, null, s13, v11, s0
	s_delay_alu instid0(VALU_DEP_1)
	v_cmp_gt_u64_e64 s0, s[16:17], v[25:26]
	v_mov_b32_e32 v25, 0
	s_and_saveexec_b32 s14, s0
	s_cbranch_execz .LBB70_17
; %bb.16:                               ;   in Loop: Header=BB70_9 Depth=1
	v_add_co_u32 v25, s3, v7, s6
	s_wait_alu 0xf1ff
	v_add_co_ci_u32_e64 v26, null, s7, v8, s3
	global_load_u16 v25, v[25:26], off
	s_wait_loadcnt 0x0
	v_cvt_f32_f16_e32 v25, v25
.LBB70_17:                              ;   in Loop: Header=BB70_9 Depth=1
	s_wait_alu 0xfffe
	s_or_b32 exec_lo, exec_lo, s14
	global_load_u16 v26, v2, s[8:9]
	s_wait_loadcnt 0x0
	v_cvt_f32_f16_e32 v26, v26
	s_delay_alu instid0(VALU_DEP_1)
	v_mul_f32_e32 v26, s10, v26
	s_and_saveexec_b32 s3, vcc_lo
	s_cbranch_execnz .LBB70_21
; %bb.18:                               ;   in Loop: Header=BB70_9 Depth=1
	s_wait_alu 0xfffe
	s_or_b32 exec_lo, exec_lo, s3
	s_and_saveexec_b32 s3, s2
	s_cbranch_execnz .LBB70_22
.LBB70_19:                              ;   in Loop: Header=BB70_9 Depth=1
	s_wait_alu 0xfffe
	s_or_b32 exec_lo, exec_lo, s3
	s_and_saveexec_b32 s2, s1
	s_cbranch_execnz .LBB70_23
.LBB70_20:                              ;   in Loop: Header=BB70_9 Depth=1
	s_wait_alu 0xfffe
	s_or_b32 exec_lo, exec_lo, s2
	s_and_saveexec_b32 s1, s0
	s_cbranch_execz .LBB70_8
	s_branch .LBB70_24
.LBB70_21:                              ;   in Loop: Header=BB70_9 Depth=1
	s_delay_alu instid0(VALU_DEP_1) | instskip(SKIP_1) | instid1(VALU_DEP_2)
	v_div_scale_f32 v29, null, v26, v26, v28
	v_div_scale_f32 v32, vcc_lo, v28, v26, v28
	v_rcp_f32_e32 v30, v29
	s_delay_alu instid0(TRANS32_DEP_1) | instskip(NEXT) | instid1(VALU_DEP_1)
	v_fma_f32 v31, -v29, v30, 1.0
	v_fmac_f32_e32 v30, v31, v30
	s_delay_alu instid0(VALU_DEP_1) | instskip(NEXT) | instid1(VALU_DEP_1)
	v_mul_f32_e32 v31, v32, v30
	v_fma_f32 v33, -v29, v31, v32
	s_delay_alu instid0(VALU_DEP_1) | instskip(NEXT) | instid1(VALU_DEP_1)
	v_fmac_f32_e32 v31, v33, v30
	v_fma_f32 v29, -v29, v31, v32
	s_wait_alu 0xfffd
	s_delay_alu instid0(VALU_DEP_1) | instskip(NEXT) | instid1(VALU_DEP_1)
	v_div_fmas_f32 v29, v29, v30, v31
	v_div_fixup_f32 v28, v29, v26, v28
	s_delay_alu instid0(VALU_DEP_1)
	v_cvt_f16_f32_e32 v30, v28
	v_add_co_u32 v28, vcc_lo, v5, s6
	s_wait_alu 0xfffd
	v_add_co_ci_u32_e64 v29, null, s7, v6, vcc_lo
	global_store_b16 v[28:29], v30, off
	s_wait_alu 0xfffe
	s_or_b32 exec_lo, exec_lo, s3
	s_and_saveexec_b32 s3, s2
	s_cbranch_execz .LBB70_19
.LBB70_22:                              ;   in Loop: Header=BB70_9 Depth=1
	v_div_scale_f32 v28, null, v26, v26, v27
	v_div_scale_f32 v31, vcc_lo, v27, v26, v27
	s_delay_alu instid0(VALU_DEP_2) | instskip(NEXT) | instid1(TRANS32_DEP_1)
	v_rcp_f32_e32 v29, v28
	v_fma_f32 v30, -v28, v29, 1.0
	s_delay_alu instid0(VALU_DEP_1) | instskip(NEXT) | instid1(VALU_DEP_1)
	v_fmac_f32_e32 v29, v30, v29
	v_mul_f32_e32 v30, v31, v29
	s_delay_alu instid0(VALU_DEP_1) | instskip(NEXT) | instid1(VALU_DEP_1)
	v_fma_f32 v32, -v28, v30, v31
	v_fmac_f32_e32 v30, v32, v29
	s_delay_alu instid0(VALU_DEP_1) | instskip(SKIP_1) | instid1(VALU_DEP_1)
	v_fma_f32 v28, -v28, v30, v31
	s_wait_alu 0xfffd
	v_div_fmas_f32 v28, v28, v29, v30
	s_delay_alu instid0(VALU_DEP_1) | instskip(NEXT) | instid1(VALU_DEP_1)
	v_div_fixup_f32 v27, v28, v26, v27
	v_cvt_f16_f32_e32 v29, v27
	v_add_co_u32 v27, vcc_lo, v22, s6
	s_wait_alu 0xfffd
	v_add_co_ci_u32_e64 v28, null, s7, v23, vcc_lo
	global_store_b16 v[27:28], v29, off
	s_wait_alu 0xfffe
	s_or_b32 exec_lo, exec_lo, s3
	s_and_saveexec_b32 s2, s1
	s_cbranch_execz .LBB70_20
.LBB70_23:                              ;   in Loop: Header=BB70_9 Depth=1
	v_div_scale_f32 v27, null, v26, v26, v24
	v_div_scale_f32 v30, vcc_lo, v24, v26, v24
	s_delay_alu instid0(VALU_DEP_2) | instskip(NEXT) | instid1(TRANS32_DEP_1)
	v_rcp_f32_e32 v28, v27
	v_fma_f32 v29, -v27, v28, 1.0
	s_delay_alu instid0(VALU_DEP_1) | instskip(NEXT) | instid1(VALU_DEP_1)
	v_fmac_f32_e32 v28, v29, v28
	v_mul_f32_e32 v29, v30, v28
	s_delay_alu instid0(VALU_DEP_1) | instskip(NEXT) | instid1(VALU_DEP_1)
	v_fma_f32 v31, -v27, v29, v30
	v_fmac_f32_e32 v29, v31, v28
	s_delay_alu instid0(VALU_DEP_1) | instskip(SKIP_1) | instid1(VALU_DEP_1)
	v_fma_f32 v27, -v27, v29, v30
	s_wait_alu 0xfffd
	v_div_fmas_f32 v27, v27, v28, v29
	s_delay_alu instid0(VALU_DEP_1) | instskip(SKIP_3) | instid1(VALU_DEP_3)
	v_div_fixup_f32 v24, v27, v26, v24
	v_add_co_u32 v27, vcc_lo, v15, s6
	s_wait_alu 0xfffd
	v_add_co_ci_u32_e64 v28, null, s7, v16, vcc_lo
	v_cvt_f16_f32_e32 v24, v24
	global_store_b16 v[27:28], v24, off
	s_wait_alu 0xfffe
	s_or_b32 exec_lo, exec_lo, s2
	s_and_saveexec_b32 s1, s0
	s_cbranch_execz .LBB70_8
.LBB70_24:                              ;   in Loop: Header=BB70_9 Depth=1
	v_div_scale_f32 v24, null, v26, v26, v25
	v_div_scale_f32 v29, vcc_lo, v25, v26, v25
	s_delay_alu instid0(VALU_DEP_2) | instskip(NEXT) | instid1(TRANS32_DEP_1)
	v_rcp_f32_e32 v27, v24
	v_fma_f32 v28, -v24, v27, 1.0
	s_delay_alu instid0(VALU_DEP_1) | instskip(NEXT) | instid1(VALU_DEP_1)
	v_fmac_f32_e32 v27, v28, v27
	v_mul_f32_e32 v28, v29, v27
	s_delay_alu instid0(VALU_DEP_1) | instskip(NEXT) | instid1(VALU_DEP_1)
	v_fma_f32 v30, -v24, v28, v29
	v_fmac_f32_e32 v28, v30, v27
	s_delay_alu instid0(VALU_DEP_1) | instskip(SKIP_1) | instid1(VALU_DEP_1)
	v_fma_f32 v24, -v24, v28, v29
	s_wait_alu 0xfffd
	v_div_fmas_f32 v24, v24, v27, v28
	s_delay_alu instid0(VALU_DEP_1) | instskip(NEXT) | instid1(VALU_DEP_1)
	v_div_fixup_f32 v24, v24, v26, v25
	v_cvt_f16_f32_e32 v26, v24
	v_add_co_u32 v24, vcc_lo, v9, s6
	s_wait_alu 0xfffd
	v_add_co_ci_u32_e64 v25, null, s7, v10, vcc_lo
	global_store_b16 v[24:25], v26, off
	s_branch .LBB70_8
.LBB70_25:
	s_endpgm
	.section	.rodata,"a",@progbits
	.p2align	6, 0x0
	.amdhsa_kernel _ZN2at6native12_GLOBAL__N_125multi_tensor_apply_kernelINS1_18TensorListMetadataILi2EEENS1_27BinaryOpScalarTensorFunctorIN3c104HalfELi2ELi1ELi1EEEJSt7dividesIfEPS7_fEEEvT_T0_DpT1_
		.amdhsa_group_segment_fixed_size 0
		.amdhsa_private_segment_fixed_size 0
		.amdhsa_kernarg_size 3424
		.amdhsa_user_sgpr_count 2
		.amdhsa_user_sgpr_dispatch_ptr 0
		.amdhsa_user_sgpr_queue_ptr 0
		.amdhsa_user_sgpr_kernarg_segment_ptr 1
		.amdhsa_user_sgpr_dispatch_id 0
		.amdhsa_user_sgpr_private_segment_size 0
		.amdhsa_wavefront_size32 1
		.amdhsa_uses_dynamic_stack 0
		.amdhsa_enable_private_segment 0
		.amdhsa_system_sgpr_workgroup_id_x 1
		.amdhsa_system_sgpr_workgroup_id_y 0
		.amdhsa_system_sgpr_workgroup_id_z 0
		.amdhsa_system_sgpr_workgroup_info 0
		.amdhsa_system_vgpr_workitem_id 0
		.amdhsa_next_free_vgpr 34
		.amdhsa_next_free_sgpr 24
		.amdhsa_reserve_vcc 1
		.amdhsa_float_round_mode_32 0
		.amdhsa_float_round_mode_16_64 0
		.amdhsa_float_denorm_mode_32 3
		.amdhsa_float_denorm_mode_16_64 3
		.amdhsa_fp16_overflow 0
		.amdhsa_workgroup_processor_mode 1
		.amdhsa_memory_ordered 1
		.amdhsa_forward_progress 1
		.amdhsa_inst_pref_size 20
		.amdhsa_round_robin_scheduling 0
		.amdhsa_exception_fp_ieee_invalid_op 0
		.amdhsa_exception_fp_denorm_src 0
		.amdhsa_exception_fp_ieee_div_zero 0
		.amdhsa_exception_fp_ieee_overflow 0
		.amdhsa_exception_fp_ieee_underflow 0
		.amdhsa_exception_fp_ieee_inexact 0
		.amdhsa_exception_int_div_zero 0
	.end_amdhsa_kernel
	.section	.text._ZN2at6native12_GLOBAL__N_125multi_tensor_apply_kernelINS1_18TensorListMetadataILi2EEENS1_27BinaryOpScalarTensorFunctorIN3c104HalfELi2ELi1ELi1EEEJSt7dividesIfEPS7_fEEEvT_T0_DpT1_,"axG",@progbits,_ZN2at6native12_GLOBAL__N_125multi_tensor_apply_kernelINS1_18TensorListMetadataILi2EEENS1_27BinaryOpScalarTensorFunctorIN3c104HalfELi2ELi1ELi1EEEJSt7dividesIfEPS7_fEEEvT_T0_DpT1_,comdat
.Lfunc_end70:
	.size	_ZN2at6native12_GLOBAL__N_125multi_tensor_apply_kernelINS1_18TensorListMetadataILi2EEENS1_27BinaryOpScalarTensorFunctorIN3c104HalfELi2ELi1ELi1EEEJSt7dividesIfEPS7_fEEEvT_T0_DpT1_, .Lfunc_end70-_ZN2at6native12_GLOBAL__N_125multi_tensor_apply_kernelINS1_18TensorListMetadataILi2EEENS1_27BinaryOpScalarTensorFunctorIN3c104HalfELi2ELi1ELi1EEEJSt7dividesIfEPS7_fEEEvT_T0_DpT1_
                                        ; -- End function
	.set _ZN2at6native12_GLOBAL__N_125multi_tensor_apply_kernelINS1_18TensorListMetadataILi2EEENS1_27BinaryOpScalarTensorFunctorIN3c104HalfELi2ELi1ELi1EEEJSt7dividesIfEPS7_fEEEvT_T0_DpT1_.num_vgpr, 34
	.set _ZN2at6native12_GLOBAL__N_125multi_tensor_apply_kernelINS1_18TensorListMetadataILi2EEENS1_27BinaryOpScalarTensorFunctorIN3c104HalfELi2ELi1ELi1EEEJSt7dividesIfEPS7_fEEEvT_T0_DpT1_.num_agpr, 0
	.set _ZN2at6native12_GLOBAL__N_125multi_tensor_apply_kernelINS1_18TensorListMetadataILi2EEENS1_27BinaryOpScalarTensorFunctorIN3c104HalfELi2ELi1ELi1EEEJSt7dividesIfEPS7_fEEEvT_T0_DpT1_.numbered_sgpr, 24
	.set _ZN2at6native12_GLOBAL__N_125multi_tensor_apply_kernelINS1_18TensorListMetadataILi2EEENS1_27BinaryOpScalarTensorFunctorIN3c104HalfELi2ELi1ELi1EEEJSt7dividesIfEPS7_fEEEvT_T0_DpT1_.num_named_barrier, 0
	.set _ZN2at6native12_GLOBAL__N_125multi_tensor_apply_kernelINS1_18TensorListMetadataILi2EEENS1_27BinaryOpScalarTensorFunctorIN3c104HalfELi2ELi1ELi1EEEJSt7dividesIfEPS7_fEEEvT_T0_DpT1_.private_seg_size, 0
	.set _ZN2at6native12_GLOBAL__N_125multi_tensor_apply_kernelINS1_18TensorListMetadataILi2EEENS1_27BinaryOpScalarTensorFunctorIN3c104HalfELi2ELi1ELi1EEEJSt7dividesIfEPS7_fEEEvT_T0_DpT1_.uses_vcc, 1
	.set _ZN2at6native12_GLOBAL__N_125multi_tensor_apply_kernelINS1_18TensorListMetadataILi2EEENS1_27BinaryOpScalarTensorFunctorIN3c104HalfELi2ELi1ELi1EEEJSt7dividesIfEPS7_fEEEvT_T0_DpT1_.uses_flat_scratch, 0
	.set _ZN2at6native12_GLOBAL__N_125multi_tensor_apply_kernelINS1_18TensorListMetadataILi2EEENS1_27BinaryOpScalarTensorFunctorIN3c104HalfELi2ELi1ELi1EEEJSt7dividesIfEPS7_fEEEvT_T0_DpT1_.has_dyn_sized_stack, 0
	.set _ZN2at6native12_GLOBAL__N_125multi_tensor_apply_kernelINS1_18TensorListMetadataILi2EEENS1_27BinaryOpScalarTensorFunctorIN3c104HalfELi2ELi1ELi1EEEJSt7dividesIfEPS7_fEEEvT_T0_DpT1_.has_recursion, 0
	.set _ZN2at6native12_GLOBAL__N_125multi_tensor_apply_kernelINS1_18TensorListMetadataILi2EEENS1_27BinaryOpScalarTensorFunctorIN3c104HalfELi2ELi1ELi1EEEJSt7dividesIfEPS7_fEEEvT_T0_DpT1_.has_indirect_call, 0
	.section	.AMDGPU.csdata,"",@progbits
; Kernel info:
; codeLenInByte = 2516
; TotalNumSgprs: 26
; NumVgprs: 34
; ScratchSize: 0
; MemoryBound: 0
; FloatMode: 240
; IeeeMode: 1
; LDSByteSize: 0 bytes/workgroup (compile time only)
; SGPRBlocks: 0
; VGPRBlocks: 4
; NumSGPRsForWavesPerEU: 26
; NumVGPRsForWavesPerEU: 34
; Occupancy: 16
; WaveLimiterHint : 0
; COMPUTE_PGM_RSRC2:SCRATCH_EN: 0
; COMPUTE_PGM_RSRC2:USER_SGPR: 2
; COMPUTE_PGM_RSRC2:TRAP_HANDLER: 0
; COMPUTE_PGM_RSRC2:TGID_X_EN: 1
; COMPUTE_PGM_RSRC2:TGID_Y_EN: 0
; COMPUTE_PGM_RSRC2:TGID_Z_EN: 0
; COMPUTE_PGM_RSRC2:TIDIG_COMP_CNT: 0
	.section	.text._ZN2at6native12_GLOBAL__N_125multi_tensor_apply_kernelINS1_18TensorListMetadataILi2EEENS1_27BinaryOpScalarTensorFunctorIN3c108BFloat16ELi2ELi1ELi1EEEJSt7dividesIfEPS7_fEEEvT_T0_DpT1_,"axG",@progbits,_ZN2at6native12_GLOBAL__N_125multi_tensor_apply_kernelINS1_18TensorListMetadataILi2EEENS1_27BinaryOpScalarTensorFunctorIN3c108BFloat16ELi2ELi1ELi1EEEJSt7dividesIfEPS7_fEEEvT_T0_DpT1_,comdat
	.globl	_ZN2at6native12_GLOBAL__N_125multi_tensor_apply_kernelINS1_18TensorListMetadataILi2EEENS1_27BinaryOpScalarTensorFunctorIN3c108BFloat16ELi2ELi1ELi1EEEJSt7dividesIfEPS7_fEEEvT_T0_DpT1_ ; -- Begin function _ZN2at6native12_GLOBAL__N_125multi_tensor_apply_kernelINS1_18TensorListMetadataILi2EEENS1_27BinaryOpScalarTensorFunctorIN3c108BFloat16ELi2ELi1ELi1EEEJSt7dividesIfEPS7_fEEEvT_T0_DpT1_
	.p2align	8
	.type	_ZN2at6native12_GLOBAL__N_125multi_tensor_apply_kernelINS1_18TensorListMetadataILi2EEENS1_27BinaryOpScalarTensorFunctorIN3c108BFloat16ELi2ELi1ELi1EEEJSt7dividesIfEPS7_fEEEvT_T0_DpT1_,@function
_ZN2at6native12_GLOBAL__N_125multi_tensor_apply_kernelINS1_18TensorListMetadataILi2EEENS1_27BinaryOpScalarTensorFunctorIN3c108BFloat16ELi2ELi1ELi1EEEJSt7dividesIfEPS7_fEEEvT_T0_DpT1_: ; @_ZN2at6native12_GLOBAL__N_125multi_tensor_apply_kernelINS1_18TensorListMetadataILi2EEENS1_27BinaryOpScalarTensorFunctorIN3c108BFloat16ELi2ELi1ELi1EEEJSt7dividesIfEPS7_fEEEvT_T0_DpT1_
; %bb.0:
	s_mov_b32 s2, ttmp9
	s_mov_b32 s3, 0
	s_delay_alu instid0(SALU_CYCLE_1)
	s_mul_u64 s[4:5], s[2:3], 3
	s_add_nc_u64 s[6:7], s[0:1], s[2:3]
	s_mov_b32 s19, s3
	s_add_nc_u64 s[4:5], s[6:7], s[4:5]
	s_clause 0x1
	s_load_b32 s4, s[4:5], 0x740
	s_load_u8 s2, s[0:1], ttmp9 offset:0x600
	s_mov_b32 s21, s3
	s_wait_kmcnt 0x0
	s_ashr_i32 s5, s4, 31
	s_lshl_b32 s2, s2, 3
	s_clause 0x3
	s_load_b64 s[12:13], s[0:1], s2 offset:0x0
	s_load_b64 s[14:15], s[0:1], s2 offset:0x200
	s_load_b64 s[16:17], s[0:1], s2 offset:0x400
	s_load_b96 s[8:10], s[0:1], 0xc50
	s_lshl_b64 s[6:7], s[4:5], 17
	s_lshl_b64 s[4:5], s[4:5], 16
	s_wait_kmcnt 0x0
	s_add_nc_u64 s[22:23], s[12:13], s[6:7]
	s_and_b32 s18, s14, 7
	s_and_b32 s20, s16, 3
	;; [unrolled: 1-line block ×3, first 2 shown]
	s_or_b64 s[18:19], s[18:19], s[20:21]
	s_sub_nc_u64 s[16:17], s[16:17], s[4:5]
	s_or_b64 s[2:3], s[18:19], s[2:3]
	s_delay_alu instid0(SALU_CYCLE_1)
	s_cmp_eq_u64 s[2:3], 0
	s_mov_b32 s2, -1
	s_cbranch_scc0 .LBB71_5
; %bb.1:
	v_cmp_gt_i64_e64 s2, 0x10000, s[16:17]
	v_dual_mov_b32 v2, 0 :: v_dual_lshlrev_b32 v1, 2, v0
	s_mov_b32 s5, exec_lo
	s_and_b32 s2, s2, exec_lo
	s_cselect_b32 s19, s17, 0
	s_cselect_b32 s18, s16, 0x10000
	s_delay_alu instid0(SALU_CYCLE_1)
	v_cmpx_gt_i64_e64 s[18:19], v[1:2]
	s_cbranch_execz .LBB71_4
; %bb.2:
	s_load_b32 s2, s[0:1], 0xc6c
	v_lshlrev_b32_e32 v3, 3, v0
	v_mov_b32_e32 v1, v2
	s_mov_b32 s20, 0
	s_delay_alu instid0(VALU_DEP_2) | instskip(NEXT) | instid1(VALU_DEP_1)
	v_add_co_u32 v5, s3, s6, v3
	v_add_co_ci_u32_e64 v6, null, s7, 0, s3
	s_delay_alu instid0(VALU_DEP_3) | instskip(SKIP_2) | instid1(SALU_CYCLE_1)
	v_dual_mov_b32 v4, v1 :: v_dual_mov_b32 v3, v0
	s_wait_kmcnt 0x0
	s_and_b32 s11, s2, 0xffff
	s_lshl_b32 s21, s11, 3
.LBB71_3:                               ; =>This Inner Loop Header: Depth=1
	v_add_co_u32 v7, vcc_lo, s12, v5
	global_load_u16 v1, v2, s[8:9]
	s_wait_alu 0xfffd
	v_add_co_ci_u32_e64 v8, null, s13, v6, vcc_lo
	v_add_co_u32 v3, vcc_lo, v3, s11
	s_wait_alu 0xfffd
	v_add_co_ci_u32_e64 v4, null, 0, v4, vcc_lo
	global_load_b64 v[7:8], v[7:8], off
	v_add_co_u32 v9, vcc_lo, s14, v5
	s_wait_alu 0xfffd
	v_add_co_ci_u32_e64 v10, null, s15, v6, vcc_lo
	v_lshlrev_b64_e32 v[11:12], 2, v[3:4]
	s_wait_loadcnt 0x1
	v_lshlrev_b32_e32 v1, 16, v1
	s_wait_loadcnt 0x0
	s_delay_alu instid0(VALU_DEP_1) | instskip(SKIP_3) | instid1(VALU_DEP_4)
	v_dual_mul_f32 v1, s10, v1 :: v_dual_and_b32 v14, 0xffff0000, v7
	v_lshlrev_b32_e32 v13, 16, v7
	v_alignbit_b32 v7, v8, v7, 16
	v_and_b32_e32 v8, 0xffff0000, v8
	v_div_scale_f32 v17, null, v1, v1, v14
	v_div_scale_f32 v18, s2, v14, v1, v14
	s_delay_alu instid0(VALU_DEP_3) | instskip(NEXT) | instid1(VALU_DEP_3)
	v_div_scale_f32 v19, null, v1, v1, v8
	v_rcp_f32_e32 v22, v17
	s_delay_alu instid0(VALU_DEP_1) | instskip(NEXT) | instid1(TRANS32_DEP_2)
	v_rcp_f32_e32 v24, v19
	v_fma_f32 v28, -v17, v22, 1.0
	s_delay_alu instid0(TRANS32_DEP_1) | instskip(NEXT) | instid1(VALU_DEP_2)
	v_fma_f32 v29, -v19, v24, 1.0
	v_fmac_f32_e32 v22, v28, v22
	s_delay_alu instid0(VALU_DEP_2) | instskip(SKIP_2) | instid1(VALU_DEP_4)
	v_fmac_f32_e32 v24, v29, v24
	v_div_scale_f32 v15, null, v1, v1, v13
	v_div_scale_f32 v16, vcc_lo, v13, v1, v13
	v_mul_f32_e32 v29, v18, v22
	s_delay_alu instid0(VALU_DEP_3) | instskip(NEXT) | instid1(VALU_DEP_1)
	v_rcp_f32_e32 v21, v15
	v_fma_f32 v31, -v17, v29, v18
	s_delay_alu instid0(VALU_DEP_1) | instskip(NEXT) | instid1(TRANS32_DEP_1)
	v_fmac_f32_e32 v29, v31, v22
	v_fma_f32 v27, -v15, v21, 1.0
	s_delay_alu instid0(VALU_DEP_1) | instskip(SKIP_2) | instid1(VALU_DEP_3)
	v_fmac_f32_e32 v21, v27, v21
	v_and_b32_e32 v7, 0xffff0000, v7
	v_div_scale_f32 v20, s3, v8, v1, v8
	v_mul_f32_e32 v28, v16, v21
	s_delay_alu instid0(VALU_DEP_3) | instskip(SKIP_1) | instid1(VALU_DEP_3)
	v_div_scale_f32 v23, null, v1, v1, v7
	v_div_scale_f32 v25, s4, v7, v1, v7
	v_fma_f32 v30, -v15, v28, v16
	s_delay_alu instid0(VALU_DEP_3) | instskip(NEXT) | instid1(VALU_DEP_1)
	v_rcp_f32_e32 v26, v23
	v_fmac_f32_e32 v28, v30, v21
	s_delay_alu instid0(VALU_DEP_1) | instskip(NEXT) | instid1(TRANS32_DEP_1)
	v_fma_f32 v15, -v15, v28, v16
	v_fma_f32 v27, -v23, v26, 1.0
	v_fma_f32 v16, -v17, v29, v18
	s_wait_alu 0xfffd
	s_delay_alu instid0(VALU_DEP_3) | instskip(NEXT) | instid1(VALU_DEP_3)
	v_div_fmas_f32 v15, v15, v21, v28
	v_dual_fmac_f32 v26, v27, v26 :: v_dual_mul_f32 v27, v20, v24
	s_mov_b32 vcc_lo, s2
	s_wait_alu 0xfffe
	v_div_fmas_f32 v16, v16, v22, v29
	s_delay_alu instid0(VALU_DEP_2)
	v_mul_f32_e32 v32, v25, v26
	v_fma_f32 v33, -v19, v27, v20
	s_mov_b32 vcc_lo, s4
	v_div_fixup_f32 v13, v15, v1, v13
	v_div_fixup_f32 v14, v16, v1, v14
	v_fma_f32 v30, -v23, v32, v25
	v_fmac_f32_e32 v27, v33, v24
	s_delay_alu instid0(VALU_DEP_3) | instskip(NEXT) | instid1(VALU_DEP_3)
	v_cmp_o_f32_e64 s2, v14, v14
	v_fmac_f32_e32 v32, v30, v26
	s_delay_alu instid0(VALU_DEP_3) | instskip(NEXT) | instid1(VALU_DEP_2)
	v_fma_f32 v17, -v19, v27, v20
	v_fma_f32 v18, -v23, v32, v25
	s_wait_alu 0xfffe
	s_delay_alu instid0(VALU_DEP_1)
	v_div_fmas_f32 v15, v18, v26, v32
	s_mov_b32 vcc_lo, s3
	s_wait_alu 0xfffe
	v_div_fmas_f32 v16, v17, v24, v27
	v_bfe_u32 v17, v13, 16, 1
	v_div_fixup_f32 v7, v15, v1, v7
	v_bfe_u32 v15, v14, 16, 1
	v_cmp_o_f32_e32 vcc_lo, v13, v13
	v_div_fixup_f32 v1, v16, v1, v8
	v_add3_u32 v8, v13, v17, 0x7fff
	v_bfe_u32 v16, v7, 16, 1
	v_add3_u32 v15, v14, v15, 0x7fff
	v_cmp_o_f32_e64 s3, v7, v7
	v_bfe_u32 v17, v1, 16, 1
	v_lshrrev_b32_e32 v8, 16, v8
	v_add3_u32 v16, v7, v16, 0x7fff
	v_and_b32_e32 v13, 0xffff0000, v15
	s_delay_alu instid0(VALU_DEP_4)
	v_add3_u32 v15, v1, v17, 0x7fff
	s_wait_alu 0xfffd
	v_cndmask_b32_e32 v7, 0x7fc0, v8, vcc_lo
	v_lshrrev_b32_e32 v14, 16, v16
	v_cndmask_b32_e64 v13, 0x7fc00000, v13, s2
	v_cmp_o_f32_e32 vcc_lo, v1, v1
	v_and_b32_e32 v8, 0xffff0000, v15
	v_cmp_le_i64_e64 s2, s[18:19], v[11:12]
	s_wait_alu 0xf1ff
	v_cndmask_b32_e64 v1, 0x7fc0, v14, s3
	v_or_b32_e32 v7, v7, v13
	s_wait_alu 0xfffd
	v_cndmask_b32_e32 v8, 0x7fc00000, v8, vcc_lo
	v_add_co_u32 v5, vcc_lo, v5, s21
	s_delay_alu instid0(VALU_DEP_3)
	v_or3_b32 v7, v7, 0, 0
	s_wait_alu 0xfffd
	v_add_co_ci_u32_e64 v6, null, 0, v6, vcc_lo
	v_or3_b32 v8, 0, v1, v8
	s_or_b32 s20, s2, s20
	global_store_b64 v[9:10], v[7:8], off
	s_wait_alu 0xfffe
	s_and_not1_b32 exec_lo, exec_lo, s20
	s_cbranch_execnz .LBB71_3
.LBB71_4:
	s_or_b32 exec_lo, exec_lo, s5
	s_mov_b32 s2, 0
.LBB71_5:
	s_wait_alu 0xfffe
	s_and_not1_b32 vcc_lo, exec_lo, s2
	s_wait_alu 0xfffe
	s_cbranch_vccnz .LBB71_25
; %bb.6:
	v_cmp_lt_i64_e64 s2, s[16:17], 1
	s_and_b32 vcc_lo, exec_lo, s2
	s_wait_alu 0xfffe
	s_cbranch_vccnz .LBB71_25
; %bb.7:
	s_load_b32 s0, s[0:1], 0xc6c
	v_cmp_gt_i64_e64 s1, 0x10000, s[16:17]
	v_dual_mov_b32 v2, 0 :: v_dual_lshlrev_b32 v1, 1, v0
	v_cmp_gt_u64_e64 s2, 0x10000, s[16:17]
	s_mov_b32 s19, 0
	s_and_b32 s1, s1, exec_lo
	v_add_co_u32 v3, s3, s12, v1
	s_cselect_b32 s5, s17, 0
	s_cselect_b32 s4, s16, 0x10000
	v_add_co_ci_u32_e64 v4, null, s13, 0, s3
	v_add_co_u32 v5, s3, s14, v1
	s_wait_alu 0xf1ff
	v_add_co_ci_u32_e64 v6, null, s15, 0, s3
	s_wait_kmcnt 0x0
	s_and_b32 s0, s0, 0xffff
	s_and_b32 s1, s2, exec_lo
	s_cselect_b32 s17, s17, 0
	s_cselect_b32 s16, s16, 0x10000
	s_mul_i32 s2, s0, 3
	s_lshl_b32 s18, s0, 2
	v_mad_co_u64_u32 v[9:10], null, s0, 6, v[1:2]
	s_wait_alu 0xfffe
	v_add_co_u32 v15, s3, s18, v1
	v_add_co_u32 v1, s2, s2, v0
	s_wait_alu 0xf1ff
	v_add_co_ci_u32_e64 v11, null, 0, 0, s2
	v_add_co_u32 v14, s2, v0, s0
	s_lshl_b32 s1, s0, 1
	v_add_co_u32 v7, vcc_lo, s12, v9
	v_lshlrev_b32_e32 v22, 1, v14
	v_add_co_ci_u32_e64 v16, null, 0, 0, s3
	s_wait_alu 0xfffd
	v_add_co_ci_u32_e64 v8, null, s13, v10, vcc_lo
	v_add_co_u32 v9, vcc_lo, s14, v9
	s_wait_alu 0xfffe
	v_add_co_u32 v18, s1, s1, v0
	s_wait_alu 0xfffd
	v_add_co_ci_u32_e64 v10, null, s15, v10, vcc_lo
	v_add_co_u32 v12, vcc_lo, s12, v15
	s_wait_alu 0xf1ff
	v_add_co_ci_u32_e64 v19, null, 0, 0, s1
	v_add_co_u32 v20, s1, s12, v22
	s_wait_alu 0xfffd
	v_add_co_ci_u32_e64 v13, null, s13, v16, vcc_lo
	v_add_co_u32 v15, vcc_lo, s14, v15
	s_wait_alu 0xf1ff
	v_add_co_ci_u32_e64 v21, null, s13, 0, s1
	v_add_co_u32 v22, s1, s14, v22
	s_wait_alu 0xfffd
	v_add_co_ci_u32_e64 v16, null, s15, v16, vcc_lo
	v_add_co_ci_u32_e64 v17, null, 0, 0, s2
	s_wait_alu 0xf1ff
	v_add_co_ci_u32_e64 v23, null, s15, 0, s1
	s_lshl_b32 s11, s0, 3
	s_mov_b64 s[12:13], 0
	s_branch .LBB71_9
.LBB71_8:                               ;   in Loop: Header=BB71_9 Depth=1
	s_wait_alu 0xfffe
	s_or_b32 exec_lo, exec_lo, s1
	v_add_co_u32 v3, vcc_lo, v3, s11
	s_wait_alu 0xfffd
	v_add_co_ci_u32_e64 v4, null, 0, v4, vcc_lo
	v_add_co_u32 v5, vcc_lo, v5, s11
	s_wait_alu 0xfffd
	v_add_co_ci_u32_e64 v6, null, 0, v6, vcc_lo
	;; [unrolled: 3-line block ×5, first 2 shown]
	v_add_co_u32 v15, vcc_lo, v15, s11
	s_add_nc_u64 s[12:13], s[12:13], s[18:19]
	s_wait_alu 0xfffd
	v_add_co_ci_u32_e64 v16, null, 0, v16, vcc_lo
	v_add_co_u32 v20, vcc_lo, v20, s11
	s_wait_alu 0xfffe
	v_cmp_ge_i64_e64 s0, s[12:13], s[4:5]
	s_wait_alu 0xfffd
	v_add_co_ci_u32_e64 v21, null, 0, v21, vcc_lo
	v_add_co_u32 v22, vcc_lo, v22, s11
	s_wait_alu 0xfffd
	v_add_co_ci_u32_e64 v23, null, 0, v23, vcc_lo
	s_and_b32 vcc_lo, exec_lo, s0
	s_wait_alu 0xfffe
	s_cbranch_vccnz .LBB71_25
.LBB71_9:                               ; =>This Inner Loop Header: Depth=1
	s_wait_alu 0xfffe
	v_add_co_u32 v24, s0, v0, s12
	s_wait_alu 0xf1ff
	v_add_co_ci_u32_e64 v25, null, 0, s13, s0
	v_mov_b32_e32 v28, 0
	s_delay_alu instid0(VALU_DEP_2)
	v_cmp_gt_u64_e32 vcc_lo, s[16:17], v[24:25]
	s_and_saveexec_b32 s1, vcc_lo
	s_cbranch_execz .LBB71_11
; %bb.10:                               ;   in Loop: Header=BB71_9 Depth=1
	v_add_co_u32 v24, s0, v3, s6
	s_wait_alu 0xf1ff
	v_add_co_ci_u32_e64 v25, null, s7, v4, s0
	global_load_u16 v24, v[24:25], off
	s_wait_loadcnt 0x0
	v_lshlrev_b32_e32 v28, 16, v24
.LBB71_11:                              ;   in Loop: Header=BB71_9 Depth=1
	s_wait_alu 0xfffe
	s_or_b32 exec_lo, exec_lo, s1
	v_add_co_u32 v24, s0, v14, s12
	s_wait_alu 0xf1ff
	v_add_co_ci_u32_e64 v25, null, s13, v17, s0
	v_mov_b32_e32 v27, 0
	s_delay_alu instid0(VALU_DEP_2)
	v_cmp_gt_u64_e64 s2, s[16:17], v[24:25]
	v_mov_b32_e32 v24, 0
	s_and_saveexec_b32 s1, s2
	s_cbranch_execz .LBB71_13
; %bb.12:                               ;   in Loop: Header=BB71_9 Depth=1
	v_add_co_u32 v25, s0, v20, s6
	s_wait_alu 0xf1ff
	v_add_co_ci_u32_e64 v26, null, s7, v21, s0
	global_load_u16 v25, v[25:26], off
	s_wait_loadcnt 0x0
	v_lshlrev_b32_e32 v27, 16, v25
.LBB71_13:                              ;   in Loop: Header=BB71_9 Depth=1
	s_wait_alu 0xfffe
	s_or_b32 exec_lo, exec_lo, s1
	v_add_co_u32 v25, s0, v18, s12
	s_wait_alu 0xf1ff
	v_add_co_ci_u32_e64 v26, null, s13, v19, s0
	s_delay_alu instid0(VALU_DEP_1)
	v_cmp_gt_u64_e64 s1, s[16:17], v[25:26]
	s_and_saveexec_b32 s3, s1
	s_cbranch_execz .LBB71_15
; %bb.14:                               ;   in Loop: Header=BB71_9 Depth=1
	v_add_co_u32 v24, s0, v12, s6
	s_wait_alu 0xf1ff
	v_add_co_ci_u32_e64 v25, null, s7, v13, s0
	global_load_u16 v24, v[24:25], off
	s_wait_loadcnt 0x0
	v_lshlrev_b32_e32 v24, 16, v24
.LBB71_15:                              ;   in Loop: Header=BB71_9 Depth=1
	s_wait_alu 0xfffe
	s_or_b32 exec_lo, exec_lo, s3
	v_add_co_u32 v25, s0, v1, s12
	s_wait_alu 0xf1ff
	v_add_co_ci_u32_e64 v26, null, s13, v11, s0
	s_delay_alu instid0(VALU_DEP_1)
	v_cmp_gt_u64_e64 s0, s[16:17], v[25:26]
	v_mov_b32_e32 v25, 0
	s_and_saveexec_b32 s14, s0
	s_cbranch_execz .LBB71_17
; %bb.16:                               ;   in Loop: Header=BB71_9 Depth=1
	v_add_co_u32 v25, s3, v7, s6
	s_wait_alu 0xf1ff
	v_add_co_ci_u32_e64 v26, null, s7, v8, s3
	global_load_u16 v25, v[25:26], off
	s_wait_loadcnt 0x0
	v_lshlrev_b32_e32 v25, 16, v25
.LBB71_17:                              ;   in Loop: Header=BB71_9 Depth=1
	s_wait_alu 0xfffe
	s_or_b32 exec_lo, exec_lo, s14
	global_load_u16 v26, v2, s[8:9]
	s_wait_loadcnt 0x0
	v_lshlrev_b32_e32 v26, 16, v26
	s_delay_alu instid0(VALU_DEP_1)
	v_mul_f32_e32 v26, s10, v26
	s_and_saveexec_b32 s3, vcc_lo
	s_cbranch_execnz .LBB71_21
; %bb.18:                               ;   in Loop: Header=BB71_9 Depth=1
	s_wait_alu 0xfffe
	s_or_b32 exec_lo, exec_lo, s3
	s_and_saveexec_b32 s3, s2
	s_cbranch_execnz .LBB71_22
.LBB71_19:                              ;   in Loop: Header=BB71_9 Depth=1
	s_wait_alu 0xfffe
	s_or_b32 exec_lo, exec_lo, s3
	s_and_saveexec_b32 s2, s1
	s_cbranch_execnz .LBB71_23
.LBB71_20:                              ;   in Loop: Header=BB71_9 Depth=1
	s_wait_alu 0xfffe
	s_or_b32 exec_lo, exec_lo, s2
	s_and_saveexec_b32 s1, s0
	s_cbranch_execz .LBB71_8
	s_branch .LBB71_24
.LBB71_21:                              ;   in Loop: Header=BB71_9 Depth=1
	s_delay_alu instid0(VALU_DEP_1) | instskip(SKIP_1) | instid1(VALU_DEP_2)
	v_div_scale_f32 v29, null, v26, v26, v28
	v_div_scale_f32 v32, vcc_lo, v28, v26, v28
	v_rcp_f32_e32 v30, v29
	s_delay_alu instid0(TRANS32_DEP_1) | instskip(NEXT) | instid1(VALU_DEP_1)
	v_fma_f32 v31, -v29, v30, 1.0
	v_fmac_f32_e32 v30, v31, v30
	s_delay_alu instid0(VALU_DEP_1) | instskip(NEXT) | instid1(VALU_DEP_1)
	v_mul_f32_e32 v31, v32, v30
	v_fma_f32 v33, -v29, v31, v32
	s_delay_alu instid0(VALU_DEP_1) | instskip(NEXT) | instid1(VALU_DEP_1)
	v_fmac_f32_e32 v31, v33, v30
	v_fma_f32 v29, -v29, v31, v32
	s_wait_alu 0xfffd
	s_delay_alu instid0(VALU_DEP_1) | instskip(NEXT) | instid1(VALU_DEP_1)
	v_div_fmas_f32 v29, v29, v30, v31
	v_div_fixup_f32 v28, v29, v26, v28
	s_delay_alu instid0(VALU_DEP_1) | instskip(SKIP_1) | instid1(VALU_DEP_2)
	v_bfe_u32 v29, v28, 16, 1
	v_cmp_o_f32_e32 vcc_lo, v28, v28
	v_add3_u32 v29, v28, v29, 0x7fff
	s_delay_alu instid0(VALU_DEP_1) | instskip(SKIP_1) | instid1(VALU_DEP_1)
	v_lshrrev_b32_e32 v29, 16, v29
	s_wait_alu 0xfffd
	v_cndmask_b32_e32 v30, 0x7fc0, v29, vcc_lo
	v_add_co_u32 v28, vcc_lo, v5, s6
	s_wait_alu 0xfffd
	v_add_co_ci_u32_e64 v29, null, s7, v6, vcc_lo
	global_store_b16 v[28:29], v30, off
	s_wait_alu 0xfffe
	s_or_b32 exec_lo, exec_lo, s3
	s_and_saveexec_b32 s3, s2
	s_cbranch_execz .LBB71_19
.LBB71_22:                              ;   in Loop: Header=BB71_9 Depth=1
	v_div_scale_f32 v28, null, v26, v26, v27
	v_div_scale_f32 v31, vcc_lo, v27, v26, v27
	s_delay_alu instid0(VALU_DEP_2) | instskip(NEXT) | instid1(TRANS32_DEP_1)
	v_rcp_f32_e32 v29, v28
	v_fma_f32 v30, -v28, v29, 1.0
	s_delay_alu instid0(VALU_DEP_1) | instskip(NEXT) | instid1(VALU_DEP_1)
	v_fmac_f32_e32 v29, v30, v29
	v_mul_f32_e32 v30, v31, v29
	s_delay_alu instid0(VALU_DEP_1) | instskip(NEXT) | instid1(VALU_DEP_1)
	v_fma_f32 v32, -v28, v30, v31
	v_fmac_f32_e32 v30, v32, v29
	s_delay_alu instid0(VALU_DEP_1) | instskip(SKIP_1) | instid1(VALU_DEP_1)
	v_fma_f32 v28, -v28, v30, v31
	s_wait_alu 0xfffd
	v_div_fmas_f32 v28, v28, v29, v30
	s_delay_alu instid0(VALU_DEP_1) | instskip(NEXT) | instid1(VALU_DEP_1)
	v_div_fixup_f32 v27, v28, v26, v27
	v_bfe_u32 v28, v27, 16, 1
	v_cmp_o_f32_e32 vcc_lo, v27, v27
	s_delay_alu instid0(VALU_DEP_2) | instskip(NEXT) | instid1(VALU_DEP_1)
	v_add3_u32 v28, v27, v28, 0x7fff
	v_lshrrev_b32_e32 v28, 16, v28
	s_wait_alu 0xfffd
	s_delay_alu instid0(VALU_DEP_1)
	v_cndmask_b32_e32 v29, 0x7fc0, v28, vcc_lo
	v_add_co_u32 v27, vcc_lo, v22, s6
	s_wait_alu 0xfffd
	v_add_co_ci_u32_e64 v28, null, s7, v23, vcc_lo
	global_store_b16 v[27:28], v29, off
	s_wait_alu 0xfffe
	s_or_b32 exec_lo, exec_lo, s3
	s_and_saveexec_b32 s2, s1
	s_cbranch_execz .LBB71_20
.LBB71_23:                              ;   in Loop: Header=BB71_9 Depth=1
	v_div_scale_f32 v27, null, v26, v26, v24
	v_div_scale_f32 v30, vcc_lo, v24, v26, v24
	s_delay_alu instid0(VALU_DEP_2) | instskip(NEXT) | instid1(TRANS32_DEP_1)
	v_rcp_f32_e32 v28, v27
	v_fma_f32 v29, -v27, v28, 1.0
	s_delay_alu instid0(VALU_DEP_1) | instskip(NEXT) | instid1(VALU_DEP_1)
	v_fmac_f32_e32 v28, v29, v28
	v_mul_f32_e32 v29, v30, v28
	s_delay_alu instid0(VALU_DEP_1) | instskip(NEXT) | instid1(VALU_DEP_1)
	v_fma_f32 v31, -v27, v29, v30
	v_fmac_f32_e32 v29, v31, v28
	s_delay_alu instid0(VALU_DEP_1) | instskip(SKIP_1) | instid1(VALU_DEP_1)
	v_fma_f32 v27, -v27, v29, v30
	s_wait_alu 0xfffd
	v_div_fmas_f32 v27, v27, v28, v29
	s_delay_alu instid0(VALU_DEP_1) | instskip(NEXT) | instid1(VALU_DEP_1)
	v_div_fixup_f32 v24, v27, v26, v24
	v_bfe_u32 v27, v24, 16, 1
	v_cmp_o_f32_e32 vcc_lo, v24, v24
	s_delay_alu instid0(VALU_DEP_2) | instskip(NEXT) | instid1(VALU_DEP_1)
	v_add3_u32 v27, v24, v27, 0x7fff
	v_lshrrev_b32_e32 v27, 16, v27
	s_wait_alu 0xfffd
	s_delay_alu instid0(VALU_DEP_1)
	v_cndmask_b32_e32 v24, 0x7fc0, v27, vcc_lo
	v_add_co_u32 v27, vcc_lo, v15, s6
	s_wait_alu 0xfffd
	v_add_co_ci_u32_e64 v28, null, s7, v16, vcc_lo
	global_store_b16 v[27:28], v24, off
	s_wait_alu 0xfffe
	s_or_b32 exec_lo, exec_lo, s2
	s_and_saveexec_b32 s1, s0
	s_cbranch_execz .LBB71_8
.LBB71_24:                              ;   in Loop: Header=BB71_9 Depth=1
	v_div_scale_f32 v24, null, v26, v26, v25
	v_div_scale_f32 v29, vcc_lo, v25, v26, v25
	s_delay_alu instid0(VALU_DEP_2) | instskip(NEXT) | instid1(TRANS32_DEP_1)
	v_rcp_f32_e32 v27, v24
	v_fma_f32 v28, -v24, v27, 1.0
	s_delay_alu instid0(VALU_DEP_1) | instskip(NEXT) | instid1(VALU_DEP_1)
	v_fmac_f32_e32 v27, v28, v27
	v_mul_f32_e32 v28, v29, v27
	s_delay_alu instid0(VALU_DEP_1) | instskip(NEXT) | instid1(VALU_DEP_1)
	v_fma_f32 v30, -v24, v28, v29
	v_fmac_f32_e32 v28, v30, v27
	s_delay_alu instid0(VALU_DEP_1) | instskip(SKIP_1) | instid1(VALU_DEP_1)
	v_fma_f32 v24, -v24, v28, v29
	s_wait_alu 0xfffd
	v_div_fmas_f32 v24, v24, v27, v28
	s_delay_alu instid0(VALU_DEP_1) | instskip(NEXT) | instid1(VALU_DEP_1)
	v_div_fixup_f32 v24, v24, v26, v25
	v_bfe_u32 v25, v24, 16, 1
	v_cmp_o_f32_e32 vcc_lo, v24, v24
	s_delay_alu instid0(VALU_DEP_2) | instskip(NEXT) | instid1(VALU_DEP_1)
	v_add3_u32 v25, v24, v25, 0x7fff
	v_lshrrev_b32_e32 v25, 16, v25
	s_wait_alu 0xfffd
	s_delay_alu instid0(VALU_DEP_1)
	v_cndmask_b32_e32 v26, 0x7fc0, v25, vcc_lo
	v_add_co_u32 v24, vcc_lo, v9, s6
	s_wait_alu 0xfffd
	v_add_co_ci_u32_e64 v25, null, s7, v10, vcc_lo
	global_store_b16 v[24:25], v26, off
	s_branch .LBB71_8
.LBB71_25:
	s_endpgm
	.section	.rodata,"a",@progbits
	.p2align	6, 0x0
	.amdhsa_kernel _ZN2at6native12_GLOBAL__N_125multi_tensor_apply_kernelINS1_18TensorListMetadataILi2EEENS1_27BinaryOpScalarTensorFunctorIN3c108BFloat16ELi2ELi1ELi1EEEJSt7dividesIfEPS7_fEEEvT_T0_DpT1_
		.amdhsa_group_segment_fixed_size 0
		.amdhsa_private_segment_fixed_size 0
		.amdhsa_kernarg_size 3424
		.amdhsa_user_sgpr_count 2
		.amdhsa_user_sgpr_dispatch_ptr 0
		.amdhsa_user_sgpr_queue_ptr 0
		.amdhsa_user_sgpr_kernarg_segment_ptr 1
		.amdhsa_user_sgpr_dispatch_id 0
		.amdhsa_user_sgpr_private_segment_size 0
		.amdhsa_wavefront_size32 1
		.amdhsa_uses_dynamic_stack 0
		.amdhsa_enable_private_segment 0
		.amdhsa_system_sgpr_workgroup_id_x 1
		.amdhsa_system_sgpr_workgroup_id_y 0
		.amdhsa_system_sgpr_workgroup_id_z 0
		.amdhsa_system_sgpr_workgroup_info 0
		.amdhsa_system_vgpr_workitem_id 0
		.amdhsa_next_free_vgpr 34
		.amdhsa_next_free_sgpr 24
		.amdhsa_reserve_vcc 1
		.amdhsa_float_round_mode_32 0
		.amdhsa_float_round_mode_16_64 0
		.amdhsa_float_denorm_mode_32 3
		.amdhsa_float_denorm_mode_16_64 3
		.amdhsa_fp16_overflow 0
		.amdhsa_workgroup_processor_mode 1
		.amdhsa_memory_ordered 1
		.amdhsa_forward_progress 1
		.amdhsa_inst_pref_size 23
		.amdhsa_round_robin_scheduling 0
		.amdhsa_exception_fp_ieee_invalid_op 0
		.amdhsa_exception_fp_denorm_src 0
		.amdhsa_exception_fp_ieee_div_zero 0
		.amdhsa_exception_fp_ieee_overflow 0
		.amdhsa_exception_fp_ieee_underflow 0
		.amdhsa_exception_fp_ieee_inexact 0
		.amdhsa_exception_int_div_zero 0
	.end_amdhsa_kernel
	.section	.text._ZN2at6native12_GLOBAL__N_125multi_tensor_apply_kernelINS1_18TensorListMetadataILi2EEENS1_27BinaryOpScalarTensorFunctorIN3c108BFloat16ELi2ELi1ELi1EEEJSt7dividesIfEPS7_fEEEvT_T0_DpT1_,"axG",@progbits,_ZN2at6native12_GLOBAL__N_125multi_tensor_apply_kernelINS1_18TensorListMetadataILi2EEENS1_27BinaryOpScalarTensorFunctorIN3c108BFloat16ELi2ELi1ELi1EEEJSt7dividesIfEPS7_fEEEvT_T0_DpT1_,comdat
.Lfunc_end71:
	.size	_ZN2at6native12_GLOBAL__N_125multi_tensor_apply_kernelINS1_18TensorListMetadataILi2EEENS1_27BinaryOpScalarTensorFunctorIN3c108BFloat16ELi2ELi1ELi1EEEJSt7dividesIfEPS7_fEEEvT_T0_DpT1_, .Lfunc_end71-_ZN2at6native12_GLOBAL__N_125multi_tensor_apply_kernelINS1_18TensorListMetadataILi2EEENS1_27BinaryOpScalarTensorFunctorIN3c108BFloat16ELi2ELi1ELi1EEEJSt7dividesIfEPS7_fEEEvT_T0_DpT1_
                                        ; -- End function
	.set _ZN2at6native12_GLOBAL__N_125multi_tensor_apply_kernelINS1_18TensorListMetadataILi2EEENS1_27BinaryOpScalarTensorFunctorIN3c108BFloat16ELi2ELi1ELi1EEEJSt7dividesIfEPS7_fEEEvT_T0_DpT1_.num_vgpr, 34
	.set _ZN2at6native12_GLOBAL__N_125multi_tensor_apply_kernelINS1_18TensorListMetadataILi2EEENS1_27BinaryOpScalarTensorFunctorIN3c108BFloat16ELi2ELi1ELi1EEEJSt7dividesIfEPS7_fEEEvT_T0_DpT1_.num_agpr, 0
	.set _ZN2at6native12_GLOBAL__N_125multi_tensor_apply_kernelINS1_18TensorListMetadataILi2EEENS1_27BinaryOpScalarTensorFunctorIN3c108BFloat16ELi2ELi1ELi1EEEJSt7dividesIfEPS7_fEEEvT_T0_DpT1_.numbered_sgpr, 24
	.set _ZN2at6native12_GLOBAL__N_125multi_tensor_apply_kernelINS1_18TensorListMetadataILi2EEENS1_27BinaryOpScalarTensorFunctorIN3c108BFloat16ELi2ELi1ELi1EEEJSt7dividesIfEPS7_fEEEvT_T0_DpT1_.num_named_barrier, 0
	.set _ZN2at6native12_GLOBAL__N_125multi_tensor_apply_kernelINS1_18TensorListMetadataILi2EEENS1_27BinaryOpScalarTensorFunctorIN3c108BFloat16ELi2ELi1ELi1EEEJSt7dividesIfEPS7_fEEEvT_T0_DpT1_.private_seg_size, 0
	.set _ZN2at6native12_GLOBAL__N_125multi_tensor_apply_kernelINS1_18TensorListMetadataILi2EEENS1_27BinaryOpScalarTensorFunctorIN3c108BFloat16ELi2ELi1ELi1EEEJSt7dividesIfEPS7_fEEEvT_T0_DpT1_.uses_vcc, 1
	.set _ZN2at6native12_GLOBAL__N_125multi_tensor_apply_kernelINS1_18TensorListMetadataILi2EEENS1_27BinaryOpScalarTensorFunctorIN3c108BFloat16ELi2ELi1ELi1EEEJSt7dividesIfEPS7_fEEEvT_T0_DpT1_.uses_flat_scratch, 0
	.set _ZN2at6native12_GLOBAL__N_125multi_tensor_apply_kernelINS1_18TensorListMetadataILi2EEENS1_27BinaryOpScalarTensorFunctorIN3c108BFloat16ELi2ELi1ELi1EEEJSt7dividesIfEPS7_fEEEvT_T0_DpT1_.has_dyn_sized_stack, 0
	.set _ZN2at6native12_GLOBAL__N_125multi_tensor_apply_kernelINS1_18TensorListMetadataILi2EEENS1_27BinaryOpScalarTensorFunctorIN3c108BFloat16ELi2ELi1ELi1EEEJSt7dividesIfEPS7_fEEEvT_T0_DpT1_.has_recursion, 0
	.set _ZN2at6native12_GLOBAL__N_125multi_tensor_apply_kernelINS1_18TensorListMetadataILi2EEENS1_27BinaryOpScalarTensorFunctorIN3c108BFloat16ELi2ELi1ELi1EEEJSt7dividesIfEPS7_fEEEvT_T0_DpT1_.has_indirect_call, 0
	.section	.AMDGPU.csdata,"",@progbits
; Kernel info:
; codeLenInByte = 2880
; TotalNumSgprs: 26
; NumVgprs: 34
; ScratchSize: 0
; MemoryBound: 0
; FloatMode: 240
; IeeeMode: 1
; LDSByteSize: 0 bytes/workgroup (compile time only)
; SGPRBlocks: 0
; VGPRBlocks: 4
; NumSGPRsForWavesPerEU: 26
; NumVGPRsForWavesPerEU: 34
; Occupancy: 16
; WaveLimiterHint : 0
; COMPUTE_PGM_RSRC2:SCRATCH_EN: 0
; COMPUTE_PGM_RSRC2:USER_SGPR: 2
; COMPUTE_PGM_RSRC2:TRAP_HANDLER: 0
; COMPUTE_PGM_RSRC2:TGID_X_EN: 1
; COMPUTE_PGM_RSRC2:TGID_Y_EN: 0
; COMPUTE_PGM_RSRC2:TGID_Z_EN: 0
; COMPUTE_PGM_RSRC2:TIDIG_COMP_CNT: 0
	.section	.AMDGPU.gpr_maximums,"",@progbits
	.set amdgpu.max_num_vgpr, 0
	.set amdgpu.max_num_agpr, 0
	.set amdgpu.max_num_sgpr, 0
	.section	.AMDGPU.csdata,"",@progbits
	.type	__hip_cuid_d6c250a1921bfc6b,@object ; @__hip_cuid_d6c250a1921bfc6b
	.section	.bss,"aw",@nobits
	.globl	__hip_cuid_d6c250a1921bfc6b
__hip_cuid_d6c250a1921bfc6b:
	.byte	0                               ; 0x0
	.size	__hip_cuid_d6c250a1921bfc6b, 1

	.ident	"AMD clang version 22.0.0git (https://github.com/RadeonOpenCompute/llvm-project roc-7.2.4 26084 f58b06dce1f9c15707c5f808fd002e18c2accf7e)"
	.section	".note.GNU-stack","",@progbits
	.addrsig
	.addrsig_sym __hip_cuid_d6c250a1921bfc6b
	.amdgpu_metadata
---
amdhsa.kernels:
  - .args:
      - .offset:         0
        .size:           3368
        .value_kind:     by_value
      - .offset:         3368
        .size:           1
        .value_kind:     by_value
      - .offset:         3369
        .size:           1
        .value_kind:     by_value
      - .address_space:  global
        .offset:         3376
        .size:           8
        .value_kind:     global_buffer
      - .offset:         3384
        .size:           1
        .value_kind:     by_value
      - .offset:         3392
        .size:           4
        .value_kind:     hidden_block_count_x
      - .offset:         3396
        .size:           4
        .value_kind:     hidden_block_count_y
      - .offset:         3400
        .size:           4
        .value_kind:     hidden_block_count_z
      - .offset:         3404
        .size:           2
        .value_kind:     hidden_group_size_x
      - .offset:         3406
        .size:           2
        .value_kind:     hidden_group_size_y
      - .offset:         3408
        .size:           2
        .value_kind:     hidden_group_size_z
      - .offset:         3410
        .size:           2
        .value_kind:     hidden_remainder_x
      - .offset:         3412
        .size:           2
        .value_kind:     hidden_remainder_y
      - .offset:         3414
        .size:           2
        .value_kind:     hidden_remainder_z
      - .offset:         3432
        .size:           8
        .value_kind:     hidden_global_offset_x
      - .offset:         3440
        .size:           8
        .value_kind:     hidden_global_offset_y
      - .offset:         3448
        .size:           8
        .value_kind:     hidden_global_offset_z
      - .offset:         3456
        .size:           2
        .value_kind:     hidden_grid_dims
    .group_segment_fixed_size: 0
    .kernarg_segment_align: 8
    .kernarg_segment_size: 3648
    .language:       OpenCL C
    .language_version:
      - 2
      - 0
    .max_flat_workgroup_size: 512
    .name:           _ZN2at6native12_GLOBAL__N_125multi_tensor_apply_kernelINS1_18TensorListMetadataILi1EEENS1_27BinaryOpScalarTensorFunctorIhLi1ELi1ELi0EEEJSt4plusIhEPhhEEEvT_T0_DpT1_
    .private_segment_fixed_size: 0
    .sgpr_count:     26
    .sgpr_spill_count: 0
    .symbol:         _ZN2at6native12_GLOBAL__N_125multi_tensor_apply_kernelINS1_18TensorListMetadataILi1EEENS1_27BinaryOpScalarTensorFunctorIhLi1ELi1ELi0EEEJSt4plusIhEPhhEEEvT_T0_DpT1_.kd
    .uniform_work_group_size: 1
    .uses_dynamic_stack: false
    .vgpr_count:     21
    .vgpr_spill_count: 0
    .wavefront_size: 32
    .workgroup_processor_mode: 1
  - .args:
      - .offset:         0
        .size:           3368
        .value_kind:     by_value
      - .offset:         3368
        .size:           1
        .value_kind:     by_value
      - .offset:         3369
        .size:           1
        .value_kind:     by_value
      - .address_space:  global
        .offset:         3376
        .size:           8
        .value_kind:     global_buffer
      - .offset:         3384
        .size:           1
        .value_kind:     by_value
      - .offset:         3392
        .size:           4
        .value_kind:     hidden_block_count_x
      - .offset:         3396
        .size:           4
        .value_kind:     hidden_block_count_y
      - .offset:         3400
        .size:           4
        .value_kind:     hidden_block_count_z
      - .offset:         3404
        .size:           2
        .value_kind:     hidden_group_size_x
      - .offset:         3406
        .size:           2
        .value_kind:     hidden_group_size_y
      - .offset:         3408
        .size:           2
        .value_kind:     hidden_group_size_z
      - .offset:         3410
        .size:           2
        .value_kind:     hidden_remainder_x
      - .offset:         3412
        .size:           2
        .value_kind:     hidden_remainder_y
      - .offset:         3414
        .size:           2
        .value_kind:     hidden_remainder_z
      - .offset:         3432
        .size:           8
        .value_kind:     hidden_global_offset_x
      - .offset:         3440
        .size:           8
        .value_kind:     hidden_global_offset_y
      - .offset:         3448
        .size:           8
        .value_kind:     hidden_global_offset_z
      - .offset:         3456
        .size:           2
        .value_kind:     hidden_grid_dims
    .group_segment_fixed_size: 0
    .kernarg_segment_align: 8
    .kernarg_segment_size: 3648
    .language:       OpenCL C
    .language_version:
      - 2
      - 0
    .max_flat_workgroup_size: 512
    .name:           _ZN2at6native12_GLOBAL__N_125multi_tensor_apply_kernelINS1_18TensorListMetadataILi1EEENS1_27BinaryOpScalarTensorFunctorIaLi1ELi1ELi0EEEJSt4plusIaEPaaEEEvT_T0_DpT1_
    .private_segment_fixed_size: 0
    .sgpr_count:     26
    .sgpr_spill_count: 0
    .symbol:         _ZN2at6native12_GLOBAL__N_125multi_tensor_apply_kernelINS1_18TensorListMetadataILi1EEENS1_27BinaryOpScalarTensorFunctorIaLi1ELi1ELi0EEEJSt4plusIaEPaaEEEvT_T0_DpT1_.kd
    .uniform_work_group_size: 1
    .uses_dynamic_stack: false
    .vgpr_count:     21
    .vgpr_spill_count: 0
    .wavefront_size: 32
    .workgroup_processor_mode: 1
  - .args:
      - .offset:         0
        .size:           3368
        .value_kind:     by_value
      - .offset:         3368
        .size:           1
        .value_kind:     by_value
      - .offset:         3369
        .size:           1
        .value_kind:     by_value
      - .address_space:  global
        .offset:         3376
        .size:           8
        .value_kind:     global_buffer
      - .offset:         3384
        .size:           4
        .value_kind:     by_value
      - .offset:         3392
        .size:           4
        .value_kind:     hidden_block_count_x
      - .offset:         3396
        .size:           4
        .value_kind:     hidden_block_count_y
      - .offset:         3400
        .size:           4
        .value_kind:     hidden_block_count_z
      - .offset:         3404
        .size:           2
        .value_kind:     hidden_group_size_x
      - .offset:         3406
        .size:           2
        .value_kind:     hidden_group_size_y
      - .offset:         3408
        .size:           2
        .value_kind:     hidden_group_size_z
      - .offset:         3410
        .size:           2
        .value_kind:     hidden_remainder_x
      - .offset:         3412
        .size:           2
        .value_kind:     hidden_remainder_y
      - .offset:         3414
        .size:           2
        .value_kind:     hidden_remainder_z
      - .offset:         3432
        .size:           8
        .value_kind:     hidden_global_offset_x
      - .offset:         3440
        .size:           8
        .value_kind:     hidden_global_offset_y
      - .offset:         3448
        .size:           8
        .value_kind:     hidden_global_offset_z
      - .offset:         3456
        .size:           2
        .value_kind:     hidden_grid_dims
    .group_segment_fixed_size: 0
    .kernarg_segment_align: 8
    .kernarg_segment_size: 3648
    .language:       OpenCL C
    .language_version:
      - 2
      - 0
    .max_flat_workgroup_size: 512
    .name:           _ZN2at6native12_GLOBAL__N_125multi_tensor_apply_kernelINS1_18TensorListMetadataILi1EEENS1_27BinaryOpScalarTensorFunctorIiLi1ELi1ELi0EEEJSt4plusIiEPiiEEEvT_T0_DpT1_
    .private_segment_fixed_size: 0
    .sgpr_count:     30
    .sgpr_spill_count: 0
    .symbol:         _ZN2at6native12_GLOBAL__N_125multi_tensor_apply_kernelINS1_18TensorListMetadataILi1EEENS1_27BinaryOpScalarTensorFunctorIiLi1ELi1ELi0EEEJSt4plusIiEPiiEEEvT_T0_DpT1_.kd
    .uniform_work_group_size: 1
    .uses_dynamic_stack: false
    .vgpr_count:     17
    .vgpr_spill_count: 0
    .wavefront_size: 32
    .workgroup_processor_mode: 1
  - .args:
      - .offset:         0
        .size:           3368
        .value_kind:     by_value
      - .offset:         3368
        .size:           1
        .value_kind:     by_value
      - .offset:         3369
        .size:           1
        .value_kind:     by_value
      - .address_space:  global
        .offset:         3376
        .size:           8
        .value_kind:     global_buffer
      - .offset:         3384
        .size:           8
        .value_kind:     by_value
      - .offset:         3392
        .size:           4
        .value_kind:     hidden_block_count_x
      - .offset:         3396
        .size:           4
        .value_kind:     hidden_block_count_y
      - .offset:         3400
        .size:           4
        .value_kind:     hidden_block_count_z
      - .offset:         3404
        .size:           2
        .value_kind:     hidden_group_size_x
      - .offset:         3406
        .size:           2
        .value_kind:     hidden_group_size_y
      - .offset:         3408
        .size:           2
        .value_kind:     hidden_group_size_z
      - .offset:         3410
        .size:           2
        .value_kind:     hidden_remainder_x
      - .offset:         3412
        .size:           2
        .value_kind:     hidden_remainder_y
      - .offset:         3414
        .size:           2
        .value_kind:     hidden_remainder_z
      - .offset:         3432
        .size:           8
        .value_kind:     hidden_global_offset_x
      - .offset:         3440
        .size:           8
        .value_kind:     hidden_global_offset_y
      - .offset:         3448
        .size:           8
        .value_kind:     hidden_global_offset_z
      - .offset:         3456
        .size:           2
        .value_kind:     hidden_grid_dims
    .group_segment_fixed_size: 0
    .kernarg_segment_align: 8
    .kernarg_segment_size: 3648
    .language:       OpenCL C
    .language_version:
      - 2
      - 0
    .max_flat_workgroup_size: 512
    .name:           _ZN2at6native12_GLOBAL__N_125multi_tensor_apply_kernelINS1_18TensorListMetadataILi1EEENS1_27BinaryOpScalarTensorFunctorIlLi1ELi1ELi0EEEJSt4plusIlEPllEEEvT_T0_DpT1_
    .private_segment_fixed_size: 0
    .sgpr_count:     31
    .sgpr_spill_count: 0
    .symbol:         _ZN2at6native12_GLOBAL__N_125multi_tensor_apply_kernelINS1_18TensorListMetadataILi1EEENS1_27BinaryOpScalarTensorFunctorIlLi1ELi1ELi0EEEJSt4plusIlEPllEEEvT_T0_DpT1_.kd
    .uniform_work_group_size: 1
    .uses_dynamic_stack: false
    .vgpr_count:     24
    .vgpr_spill_count: 0
    .wavefront_size: 32
    .workgroup_processor_mode: 1
  - .args:
      - .offset:         0
        .size:           3368
        .value_kind:     by_value
      - .offset:         3368
        .size:           1
        .value_kind:     by_value
      - .offset:         3369
        .size:           1
        .value_kind:     by_value
      - .address_space:  global
        .offset:         3376
        .size:           8
        .value_kind:     global_buffer
      - .offset:         3384
        .size:           2
        .value_kind:     by_value
      - .offset:         3392
        .size:           4
        .value_kind:     hidden_block_count_x
      - .offset:         3396
        .size:           4
        .value_kind:     hidden_block_count_y
      - .offset:         3400
        .size:           4
        .value_kind:     hidden_block_count_z
      - .offset:         3404
        .size:           2
        .value_kind:     hidden_group_size_x
      - .offset:         3406
        .size:           2
        .value_kind:     hidden_group_size_y
      - .offset:         3408
        .size:           2
        .value_kind:     hidden_group_size_z
      - .offset:         3410
        .size:           2
        .value_kind:     hidden_remainder_x
      - .offset:         3412
        .size:           2
        .value_kind:     hidden_remainder_y
      - .offset:         3414
        .size:           2
        .value_kind:     hidden_remainder_z
      - .offset:         3432
        .size:           8
        .value_kind:     hidden_global_offset_x
      - .offset:         3440
        .size:           8
        .value_kind:     hidden_global_offset_y
      - .offset:         3448
        .size:           8
        .value_kind:     hidden_global_offset_z
      - .offset:         3456
        .size:           2
        .value_kind:     hidden_grid_dims
    .group_segment_fixed_size: 0
    .kernarg_segment_align: 8
    .kernarg_segment_size: 3648
    .language:       OpenCL C
    .language_version:
      - 2
      - 0
    .max_flat_workgroup_size: 512
    .name:           _ZN2at6native12_GLOBAL__N_125multi_tensor_apply_kernelINS1_18TensorListMetadataILi1EEENS1_27BinaryOpScalarTensorFunctorIsLi1ELi1ELi0EEEJSt4plusIsEPssEEEvT_T0_DpT1_
    .private_segment_fixed_size: 0
    .sgpr_count:     29
    .sgpr_spill_count: 0
    .symbol:         _ZN2at6native12_GLOBAL__N_125multi_tensor_apply_kernelINS1_18TensorListMetadataILi1EEENS1_27BinaryOpScalarTensorFunctorIsLi1ELi1ELi0EEEJSt4plusIsEPssEEEvT_T0_DpT1_.kd
    .uniform_work_group_size: 1
    .uses_dynamic_stack: false
    .vgpr_count:     16
    .vgpr_spill_count: 0
    .wavefront_size: 32
    .workgroup_processor_mode: 1
  - .args:
      - .offset:         0
        .size:           3368
        .value_kind:     by_value
      - .offset:         3368
        .size:           1
        .value_kind:     by_value
      - .offset:         3369
        .size:           1
        .value_kind:     by_value
      - .address_space:  global
        .offset:         3376
        .size:           8
        .value_kind:     global_buffer
      - .offset:         3384
        .size:           8
        .value_kind:     by_value
      - .offset:         3392
        .size:           4
        .value_kind:     hidden_block_count_x
      - .offset:         3396
        .size:           4
        .value_kind:     hidden_block_count_y
      - .offset:         3400
        .size:           4
        .value_kind:     hidden_block_count_z
      - .offset:         3404
        .size:           2
        .value_kind:     hidden_group_size_x
      - .offset:         3406
        .size:           2
        .value_kind:     hidden_group_size_y
      - .offset:         3408
        .size:           2
        .value_kind:     hidden_group_size_z
      - .offset:         3410
        .size:           2
        .value_kind:     hidden_remainder_x
      - .offset:         3412
        .size:           2
        .value_kind:     hidden_remainder_y
      - .offset:         3414
        .size:           2
        .value_kind:     hidden_remainder_z
      - .offset:         3432
        .size:           8
        .value_kind:     hidden_global_offset_x
      - .offset:         3440
        .size:           8
        .value_kind:     hidden_global_offset_y
      - .offset:         3448
        .size:           8
        .value_kind:     hidden_global_offset_z
      - .offset:         3456
        .size:           2
        .value_kind:     hidden_grid_dims
    .group_segment_fixed_size: 0
    .kernarg_segment_align: 8
    .kernarg_segment_size: 3648
    .language:       OpenCL C
    .language_version:
      - 2
      - 0
    .max_flat_workgroup_size: 512
    .name:           _ZN2at6native12_GLOBAL__N_125multi_tensor_apply_kernelINS1_18TensorListMetadataILi1EEENS1_27BinaryOpScalarTensorFunctorIdLi1ELi1ELi0EEEJSt4plusIdEPddEEEvT_T0_DpT1_
    .private_segment_fixed_size: 0
    .sgpr_count:     31
    .sgpr_spill_count: 0
    .symbol:         _ZN2at6native12_GLOBAL__N_125multi_tensor_apply_kernelINS1_18TensorListMetadataILi1EEENS1_27BinaryOpScalarTensorFunctorIdLi1ELi1ELi0EEEJSt4plusIdEPddEEEvT_T0_DpT1_.kd
    .uniform_work_group_size: 1
    .uses_dynamic_stack: false
    .vgpr_count:     22
    .vgpr_spill_count: 0
    .wavefront_size: 32
    .workgroup_processor_mode: 1
  - .args:
      - .offset:         0
        .size:           3368
        .value_kind:     by_value
      - .offset:         3368
        .size:           1
        .value_kind:     by_value
      - .offset:         3369
        .size:           1
        .value_kind:     by_value
      - .address_space:  global
        .offset:         3376
        .size:           8
        .value_kind:     global_buffer
      - .offset:         3384
        .size:           4
        .value_kind:     by_value
      - .offset:         3392
        .size:           4
        .value_kind:     hidden_block_count_x
      - .offset:         3396
        .size:           4
        .value_kind:     hidden_block_count_y
      - .offset:         3400
        .size:           4
        .value_kind:     hidden_block_count_z
      - .offset:         3404
        .size:           2
        .value_kind:     hidden_group_size_x
      - .offset:         3406
        .size:           2
        .value_kind:     hidden_group_size_y
      - .offset:         3408
        .size:           2
        .value_kind:     hidden_group_size_z
      - .offset:         3410
        .size:           2
        .value_kind:     hidden_remainder_x
      - .offset:         3412
        .size:           2
        .value_kind:     hidden_remainder_y
      - .offset:         3414
        .size:           2
        .value_kind:     hidden_remainder_z
      - .offset:         3432
        .size:           8
        .value_kind:     hidden_global_offset_x
      - .offset:         3440
        .size:           8
        .value_kind:     hidden_global_offset_y
      - .offset:         3448
        .size:           8
        .value_kind:     hidden_global_offset_z
      - .offset:         3456
        .size:           2
        .value_kind:     hidden_grid_dims
    .group_segment_fixed_size: 0
    .kernarg_segment_align: 8
    .kernarg_segment_size: 3648
    .language:       OpenCL C
    .language_version:
      - 2
      - 0
    .max_flat_workgroup_size: 512
    .name:           _ZN2at6native12_GLOBAL__N_125multi_tensor_apply_kernelINS1_18TensorListMetadataILi1EEENS1_27BinaryOpScalarTensorFunctorIfLi1ELi1ELi0EEEJSt4plusIfEPffEEEvT_T0_DpT1_
    .private_segment_fixed_size: 0
    .sgpr_count:     30
    .sgpr_spill_count: 0
    .symbol:         _ZN2at6native12_GLOBAL__N_125multi_tensor_apply_kernelINS1_18TensorListMetadataILi1EEENS1_27BinaryOpScalarTensorFunctorIfLi1ELi1ELi0EEEJSt4plusIfEPffEEEvT_T0_DpT1_.kd
    .uniform_work_group_size: 1
    .uses_dynamic_stack: false
    .vgpr_count:     17
    .vgpr_spill_count: 0
    .wavefront_size: 32
    .workgroup_processor_mode: 1
  - .args:
      - .offset:         0
        .size:           3368
        .value_kind:     by_value
      - .offset:         3368
        .size:           1
        .value_kind:     by_value
      - .offset:         3369
        .size:           1
        .value_kind:     by_value
      - .address_space:  global
        .offset:         3376
        .size:           8
        .value_kind:     global_buffer
      - .offset:         3392
        .size:           16
        .value_kind:     by_value
      - .offset:         3408
        .size:           4
        .value_kind:     hidden_block_count_x
      - .offset:         3412
        .size:           4
        .value_kind:     hidden_block_count_y
      - .offset:         3416
        .size:           4
        .value_kind:     hidden_block_count_z
      - .offset:         3420
        .size:           2
        .value_kind:     hidden_group_size_x
      - .offset:         3422
        .size:           2
        .value_kind:     hidden_group_size_y
      - .offset:         3424
        .size:           2
        .value_kind:     hidden_group_size_z
      - .offset:         3426
        .size:           2
        .value_kind:     hidden_remainder_x
      - .offset:         3428
        .size:           2
        .value_kind:     hidden_remainder_y
      - .offset:         3430
        .size:           2
        .value_kind:     hidden_remainder_z
      - .offset:         3448
        .size:           8
        .value_kind:     hidden_global_offset_x
      - .offset:         3456
        .size:           8
        .value_kind:     hidden_global_offset_y
      - .offset:         3464
        .size:           8
        .value_kind:     hidden_global_offset_z
      - .offset:         3472
        .size:           2
        .value_kind:     hidden_grid_dims
    .group_segment_fixed_size: 0
    .kernarg_segment_align: 16
    .kernarg_segment_size: 3664
    .language:       OpenCL C
    .language_version:
      - 2
      - 0
    .max_flat_workgroup_size: 512
    .name:           _ZN2at6native12_GLOBAL__N_125multi_tensor_apply_kernelINS1_18TensorListMetadataILi1EEENS1_27BinaryOpScalarTensorFunctorIN3c107complexIdEELi1ELi1ELi0EEEJSt4plusIS8_EPS8_S8_EEEvT_T0_DpT1_
    .private_segment_fixed_size: 0
    .sgpr_count:     33
    .sgpr_spill_count: 0
    .symbol:         _ZN2at6native12_GLOBAL__N_125multi_tensor_apply_kernelINS1_18TensorListMetadataILi1EEENS1_27BinaryOpScalarTensorFunctorIN3c107complexIdEELi1ELi1ELi0EEEJSt4plusIS8_EPS8_S8_EEEvT_T0_DpT1_.kd
    .uniform_work_group_size: 1
    .uses_dynamic_stack: false
    .vgpr_count:     38
    .vgpr_spill_count: 0
    .wavefront_size: 32
    .workgroup_processor_mode: 1
  - .args:
      - .offset:         0
        .size:           3368
        .value_kind:     by_value
      - .offset:         3368
        .size:           1
        .value_kind:     by_value
      - .offset:         3369
        .size:           1
        .value_kind:     by_value
      - .address_space:  global
        .offset:         3376
        .size:           8
        .value_kind:     global_buffer
      - .offset:         3384
        .size:           8
        .value_kind:     by_value
      - .offset:         3392
        .size:           4
        .value_kind:     hidden_block_count_x
      - .offset:         3396
        .size:           4
        .value_kind:     hidden_block_count_y
      - .offset:         3400
        .size:           4
        .value_kind:     hidden_block_count_z
      - .offset:         3404
        .size:           2
        .value_kind:     hidden_group_size_x
      - .offset:         3406
        .size:           2
        .value_kind:     hidden_group_size_y
      - .offset:         3408
        .size:           2
        .value_kind:     hidden_group_size_z
      - .offset:         3410
        .size:           2
        .value_kind:     hidden_remainder_x
      - .offset:         3412
        .size:           2
        .value_kind:     hidden_remainder_y
      - .offset:         3414
        .size:           2
        .value_kind:     hidden_remainder_z
      - .offset:         3432
        .size:           8
        .value_kind:     hidden_global_offset_x
      - .offset:         3440
        .size:           8
        .value_kind:     hidden_global_offset_y
      - .offset:         3448
        .size:           8
        .value_kind:     hidden_global_offset_z
      - .offset:         3456
        .size:           2
        .value_kind:     hidden_grid_dims
    .group_segment_fixed_size: 0
    .kernarg_segment_align: 8
    .kernarg_segment_size: 3648
    .language:       OpenCL C
    .language_version:
      - 2
      - 0
    .max_flat_workgroup_size: 512
    .name:           _ZN2at6native12_GLOBAL__N_125multi_tensor_apply_kernelINS1_18TensorListMetadataILi1EEENS1_27BinaryOpScalarTensorFunctorIN3c107complexIfEELi1ELi1ELi0EEEJSt4plusIS8_EPS8_S8_EEEvT_T0_DpT1_
    .private_segment_fixed_size: 0
    .sgpr_count:     31
    .sgpr_spill_count: 0
    .symbol:         _ZN2at6native12_GLOBAL__N_125multi_tensor_apply_kernelINS1_18TensorListMetadataILi1EEENS1_27BinaryOpScalarTensorFunctorIN3c107complexIfEELi1ELi1ELi0EEEJSt4plusIS8_EPS8_S8_EEEvT_T0_DpT1_.kd
    .uniform_work_group_size: 1
    .uses_dynamic_stack: false
    .vgpr_count:     26
    .vgpr_spill_count: 0
    .wavefront_size: 32
    .workgroup_processor_mode: 1
  - .args:
      - .offset:         0
        .size:           3368
        .value_kind:     by_value
      - .offset:         3368
        .size:           1
        .value_kind:     by_value
      - .offset:         3369
        .size:           1
        .value_kind:     by_value
      - .address_space:  global
        .offset:         3376
        .size:           8
        .value_kind:     global_buffer
      - .offset:         3384
        .size:           1
        .value_kind:     by_value
      - .offset:         3392
        .size:           4
        .value_kind:     hidden_block_count_x
      - .offset:         3396
        .size:           4
        .value_kind:     hidden_block_count_y
      - .offset:         3400
        .size:           4
        .value_kind:     hidden_block_count_z
      - .offset:         3404
        .size:           2
        .value_kind:     hidden_group_size_x
      - .offset:         3406
        .size:           2
        .value_kind:     hidden_group_size_y
      - .offset:         3408
        .size:           2
        .value_kind:     hidden_group_size_z
      - .offset:         3410
        .size:           2
        .value_kind:     hidden_remainder_x
      - .offset:         3412
        .size:           2
        .value_kind:     hidden_remainder_y
      - .offset:         3414
        .size:           2
        .value_kind:     hidden_remainder_z
      - .offset:         3432
        .size:           8
        .value_kind:     hidden_global_offset_x
      - .offset:         3440
        .size:           8
        .value_kind:     hidden_global_offset_y
      - .offset:         3448
        .size:           8
        .value_kind:     hidden_global_offset_z
      - .offset:         3456
        .size:           2
        .value_kind:     hidden_grid_dims
    .group_segment_fixed_size: 0
    .kernarg_segment_align: 8
    .kernarg_segment_size: 3648
    .language:       OpenCL C
    .language_version:
      - 2
      - 0
    .max_flat_workgroup_size: 512
    .name:           _ZN2at6native12_GLOBAL__N_125multi_tensor_apply_kernelINS1_18TensorListMetadataILi1EEENS1_27BinaryOpScalarTensorFunctorIbLi1ELi1ELi0EEEJSt4plusIbEPbbEEEvT_T0_DpT1_
    .private_segment_fixed_size: 0
    .sgpr_count:     26
    .sgpr_spill_count: 0
    .symbol:         _ZN2at6native12_GLOBAL__N_125multi_tensor_apply_kernelINS1_18TensorListMetadataILi1EEENS1_27BinaryOpScalarTensorFunctorIbLi1ELi1ELi0EEEJSt4plusIbEPbbEEEvT_T0_DpT1_.kd
    .uniform_work_group_size: 1
    .uses_dynamic_stack: false
    .vgpr_count:     23
    .vgpr_spill_count: 0
    .wavefront_size: 32
    .workgroup_processor_mode: 1
  - .args:
      - .offset:         0
        .size:           3368
        .value_kind:     by_value
      - .offset:         3368
        .size:           1
        .value_kind:     by_value
      - .offset:         3369
        .size:           1
        .value_kind:     by_value
      - .address_space:  global
        .offset:         3376
        .size:           8
        .value_kind:     global_buffer
      - .offset:         3384
        .size:           4
        .value_kind:     by_value
      - .offset:         3392
        .size:           4
        .value_kind:     hidden_block_count_x
      - .offset:         3396
        .size:           4
        .value_kind:     hidden_block_count_y
      - .offset:         3400
        .size:           4
        .value_kind:     hidden_block_count_z
      - .offset:         3404
        .size:           2
        .value_kind:     hidden_group_size_x
      - .offset:         3406
        .size:           2
        .value_kind:     hidden_group_size_y
      - .offset:         3408
        .size:           2
        .value_kind:     hidden_group_size_z
      - .offset:         3410
        .size:           2
        .value_kind:     hidden_remainder_x
      - .offset:         3412
        .size:           2
        .value_kind:     hidden_remainder_y
      - .offset:         3414
        .size:           2
        .value_kind:     hidden_remainder_z
      - .offset:         3432
        .size:           8
        .value_kind:     hidden_global_offset_x
      - .offset:         3440
        .size:           8
        .value_kind:     hidden_global_offset_y
      - .offset:         3448
        .size:           8
        .value_kind:     hidden_global_offset_z
      - .offset:         3456
        .size:           2
        .value_kind:     hidden_grid_dims
    .group_segment_fixed_size: 0
    .kernarg_segment_align: 8
    .kernarg_segment_size: 3648
    .language:       OpenCL C
    .language_version:
      - 2
      - 0
    .max_flat_workgroup_size: 512
    .name:           _ZN2at6native12_GLOBAL__N_125multi_tensor_apply_kernelINS1_18TensorListMetadataILi1EEENS1_27BinaryOpScalarTensorFunctorIN3c104HalfELi1ELi1ELi0EEEJSt4plusIfEPS7_fEEEvT_T0_DpT1_
    .private_segment_fixed_size: 0
    .sgpr_count:     29
    .sgpr_spill_count: 0
    .symbol:         _ZN2at6native12_GLOBAL__N_125multi_tensor_apply_kernelINS1_18TensorListMetadataILi1EEENS1_27BinaryOpScalarTensorFunctorIN3c104HalfELi1ELi1ELi0EEEJSt4plusIfEPS7_fEEEvT_T0_DpT1_.kd
    .uniform_work_group_size: 1
    .uses_dynamic_stack: false
    .vgpr_count:     17
    .vgpr_spill_count: 0
    .wavefront_size: 32
    .workgroup_processor_mode: 1
  - .args:
      - .offset:         0
        .size:           3368
        .value_kind:     by_value
      - .offset:         3368
        .size:           1
        .value_kind:     by_value
      - .offset:         3369
        .size:           1
        .value_kind:     by_value
      - .address_space:  global
        .offset:         3376
        .size:           8
        .value_kind:     global_buffer
      - .offset:         3384
        .size:           4
        .value_kind:     by_value
      - .offset:         3392
        .size:           4
        .value_kind:     hidden_block_count_x
      - .offset:         3396
        .size:           4
        .value_kind:     hidden_block_count_y
      - .offset:         3400
        .size:           4
        .value_kind:     hidden_block_count_z
      - .offset:         3404
        .size:           2
        .value_kind:     hidden_group_size_x
      - .offset:         3406
        .size:           2
        .value_kind:     hidden_group_size_y
      - .offset:         3408
        .size:           2
        .value_kind:     hidden_group_size_z
      - .offset:         3410
        .size:           2
        .value_kind:     hidden_remainder_x
      - .offset:         3412
        .size:           2
        .value_kind:     hidden_remainder_y
      - .offset:         3414
        .size:           2
        .value_kind:     hidden_remainder_z
      - .offset:         3432
        .size:           8
        .value_kind:     hidden_global_offset_x
      - .offset:         3440
        .size:           8
        .value_kind:     hidden_global_offset_y
      - .offset:         3448
        .size:           8
        .value_kind:     hidden_global_offset_z
      - .offset:         3456
        .size:           2
        .value_kind:     hidden_grid_dims
    .group_segment_fixed_size: 0
    .kernarg_segment_align: 8
    .kernarg_segment_size: 3648
    .language:       OpenCL C
    .language_version:
      - 2
      - 0
    .max_flat_workgroup_size: 512
    .name:           _ZN2at6native12_GLOBAL__N_125multi_tensor_apply_kernelINS1_18TensorListMetadataILi1EEENS1_27BinaryOpScalarTensorFunctorIN3c108BFloat16ELi1ELi1ELi0EEEJSt4plusIfEPS7_fEEEvT_T0_DpT1_
    .private_segment_fixed_size: 0
    .sgpr_count:     29
    .sgpr_spill_count: 0
    .symbol:         _ZN2at6native12_GLOBAL__N_125multi_tensor_apply_kernelINS1_18TensorListMetadataILi1EEENS1_27BinaryOpScalarTensorFunctorIN3c108BFloat16ELi1ELi1ELi0EEEJSt4plusIfEPS7_fEEEvT_T0_DpT1_.kd
    .uniform_work_group_size: 1
    .uses_dynamic_stack: false
    .vgpr_count:     18
    .vgpr_spill_count: 0
    .wavefront_size: 32
    .workgroup_processor_mode: 1
  - .args:
      - .offset:         0
        .size:           3144
        .value_kind:     by_value
      - .offset:         3144
        .size:           1
        .value_kind:     by_value
      - .offset:         3145
        .size:           1
        .value_kind:     by_value
      - .address_space:  global
        .offset:         3152
        .size:           8
        .value_kind:     global_buffer
      - .offset:         3160
        .size:           1
        .value_kind:     by_value
      - .offset:         3168
        .size:           4
        .value_kind:     hidden_block_count_x
      - .offset:         3172
        .size:           4
        .value_kind:     hidden_block_count_y
      - .offset:         3176
        .size:           4
        .value_kind:     hidden_block_count_z
      - .offset:         3180
        .size:           2
        .value_kind:     hidden_group_size_x
      - .offset:         3182
        .size:           2
        .value_kind:     hidden_group_size_y
      - .offset:         3184
        .size:           2
        .value_kind:     hidden_group_size_z
      - .offset:         3186
        .size:           2
        .value_kind:     hidden_remainder_x
      - .offset:         3188
        .size:           2
        .value_kind:     hidden_remainder_y
      - .offset:         3190
        .size:           2
        .value_kind:     hidden_remainder_z
      - .offset:         3208
        .size:           8
        .value_kind:     hidden_global_offset_x
      - .offset:         3216
        .size:           8
        .value_kind:     hidden_global_offset_y
      - .offset:         3224
        .size:           8
        .value_kind:     hidden_global_offset_z
      - .offset:         3232
        .size:           2
        .value_kind:     hidden_grid_dims
    .group_segment_fixed_size: 0
    .kernarg_segment_align: 8
    .kernarg_segment_size: 3424
    .language:       OpenCL C
    .language_version:
      - 2
      - 0
    .max_flat_workgroup_size: 512
    .name:           _ZN2at6native12_GLOBAL__N_125multi_tensor_apply_kernelINS1_18TensorListMetadataILi2EEENS1_27BinaryOpScalarTensorFunctorIhLi2ELi1ELi1EEEJSt4plusIhEPhhEEEvT_T0_DpT1_
    .private_segment_fixed_size: 0
    .sgpr_count:     23
    .sgpr_spill_count: 0
    .symbol:         _ZN2at6native12_GLOBAL__N_125multi_tensor_apply_kernelINS1_18TensorListMetadataILi2EEENS1_27BinaryOpScalarTensorFunctorIhLi2ELi1ELi1EEEJSt4plusIhEPhhEEEvT_T0_DpT1_.kd
    .uniform_work_group_size: 1
    .uses_dynamic_stack: false
    .vgpr_count:     29
    .vgpr_spill_count: 0
    .wavefront_size: 32
    .workgroup_processor_mode: 1
  - .args:
      - .offset:         0
        .size:           3144
        .value_kind:     by_value
      - .offset:         3144
        .size:           1
        .value_kind:     by_value
      - .offset:         3145
        .size:           1
        .value_kind:     by_value
      - .address_space:  global
        .offset:         3152
        .size:           8
        .value_kind:     global_buffer
      - .offset:         3160
        .size:           1
        .value_kind:     by_value
      - .offset:         3168
        .size:           4
        .value_kind:     hidden_block_count_x
      - .offset:         3172
        .size:           4
        .value_kind:     hidden_block_count_y
      - .offset:         3176
        .size:           4
        .value_kind:     hidden_block_count_z
      - .offset:         3180
        .size:           2
        .value_kind:     hidden_group_size_x
      - .offset:         3182
        .size:           2
        .value_kind:     hidden_group_size_y
      - .offset:         3184
        .size:           2
        .value_kind:     hidden_group_size_z
      - .offset:         3186
        .size:           2
        .value_kind:     hidden_remainder_x
      - .offset:         3188
        .size:           2
        .value_kind:     hidden_remainder_y
      - .offset:         3190
        .size:           2
        .value_kind:     hidden_remainder_z
      - .offset:         3208
        .size:           8
        .value_kind:     hidden_global_offset_x
      - .offset:         3216
        .size:           8
        .value_kind:     hidden_global_offset_y
      - .offset:         3224
        .size:           8
        .value_kind:     hidden_global_offset_z
      - .offset:         3232
        .size:           2
        .value_kind:     hidden_grid_dims
    .group_segment_fixed_size: 0
    .kernarg_segment_align: 8
    .kernarg_segment_size: 3424
    .language:       OpenCL C
    .language_version:
      - 2
      - 0
    .max_flat_workgroup_size: 512
    .name:           _ZN2at6native12_GLOBAL__N_125multi_tensor_apply_kernelINS1_18TensorListMetadataILi2EEENS1_27BinaryOpScalarTensorFunctorIaLi2ELi1ELi1EEEJSt4plusIaEPaaEEEvT_T0_DpT1_
    .private_segment_fixed_size: 0
    .sgpr_count:     23
    .sgpr_spill_count: 0
    .symbol:         _ZN2at6native12_GLOBAL__N_125multi_tensor_apply_kernelINS1_18TensorListMetadataILi2EEENS1_27BinaryOpScalarTensorFunctorIaLi2ELi1ELi1EEEJSt4plusIaEPaaEEEvT_T0_DpT1_.kd
    .uniform_work_group_size: 1
    .uses_dynamic_stack: false
    .vgpr_count:     29
    .vgpr_spill_count: 0
    .wavefront_size: 32
    .workgroup_processor_mode: 1
  - .args:
      - .offset:         0
        .size:           3144
        .value_kind:     by_value
      - .offset:         3144
        .size:           1
        .value_kind:     by_value
      - .offset:         3145
        .size:           1
        .value_kind:     by_value
      - .address_space:  global
        .offset:         3152
        .size:           8
        .value_kind:     global_buffer
      - .offset:         3160
        .size:           4
        .value_kind:     by_value
      - .offset:         3168
        .size:           4
        .value_kind:     hidden_block_count_x
      - .offset:         3172
        .size:           4
        .value_kind:     hidden_block_count_y
      - .offset:         3176
        .size:           4
        .value_kind:     hidden_block_count_z
      - .offset:         3180
        .size:           2
        .value_kind:     hidden_group_size_x
      - .offset:         3182
        .size:           2
        .value_kind:     hidden_group_size_y
      - .offset:         3184
        .size:           2
        .value_kind:     hidden_group_size_z
      - .offset:         3186
        .size:           2
        .value_kind:     hidden_remainder_x
      - .offset:         3188
        .size:           2
        .value_kind:     hidden_remainder_y
      - .offset:         3190
        .size:           2
        .value_kind:     hidden_remainder_z
      - .offset:         3208
        .size:           8
        .value_kind:     hidden_global_offset_x
      - .offset:         3216
        .size:           8
        .value_kind:     hidden_global_offset_y
      - .offset:         3224
        .size:           8
        .value_kind:     hidden_global_offset_z
      - .offset:         3232
        .size:           2
        .value_kind:     hidden_grid_dims
    .group_segment_fixed_size: 0
    .kernarg_segment_align: 8
    .kernarg_segment_size: 3424
    .language:       OpenCL C
    .language_version:
      - 2
      - 0
    .max_flat_workgroup_size: 512
    .name:           _ZN2at6native12_GLOBAL__N_125multi_tensor_apply_kernelINS1_18TensorListMetadataILi2EEENS1_27BinaryOpScalarTensorFunctorIiLi2ELi1ELi1EEEJSt4plusIiEPiiEEEvT_T0_DpT1_
    .private_segment_fixed_size: 0
    .sgpr_count:     26
    .sgpr_spill_count: 0
    .symbol:         _ZN2at6native12_GLOBAL__N_125multi_tensor_apply_kernelINS1_18TensorListMetadataILi2EEENS1_27BinaryOpScalarTensorFunctorIiLi2ELi1ELi1EEEJSt4plusIiEPiiEEEvT_T0_DpT1_.kd
    .uniform_work_group_size: 1
    .uses_dynamic_stack: false
    .vgpr_count:     31
    .vgpr_spill_count: 0
    .wavefront_size: 32
    .workgroup_processor_mode: 1
  - .args:
      - .offset:         0
        .size:           3144
        .value_kind:     by_value
      - .offset:         3144
        .size:           1
        .value_kind:     by_value
      - .offset:         3145
        .size:           1
        .value_kind:     by_value
      - .address_space:  global
        .offset:         3152
        .size:           8
        .value_kind:     global_buffer
      - .offset:         3160
        .size:           8
        .value_kind:     by_value
      - .offset:         3168
        .size:           4
        .value_kind:     hidden_block_count_x
      - .offset:         3172
        .size:           4
        .value_kind:     hidden_block_count_y
      - .offset:         3176
        .size:           4
        .value_kind:     hidden_block_count_z
      - .offset:         3180
        .size:           2
        .value_kind:     hidden_group_size_x
      - .offset:         3182
        .size:           2
        .value_kind:     hidden_group_size_y
      - .offset:         3184
        .size:           2
        .value_kind:     hidden_group_size_z
      - .offset:         3186
        .size:           2
        .value_kind:     hidden_remainder_x
      - .offset:         3188
        .size:           2
        .value_kind:     hidden_remainder_y
      - .offset:         3190
        .size:           2
        .value_kind:     hidden_remainder_z
      - .offset:         3208
        .size:           8
        .value_kind:     hidden_global_offset_x
      - .offset:         3216
        .size:           8
        .value_kind:     hidden_global_offset_y
      - .offset:         3224
        .size:           8
        .value_kind:     hidden_global_offset_z
      - .offset:         3232
        .size:           2
        .value_kind:     hidden_grid_dims
    .group_segment_fixed_size: 0
    .kernarg_segment_align: 8
    .kernarg_segment_size: 3424
    .language:       OpenCL C
    .language_version:
      - 2
      - 0
    .max_flat_workgroup_size: 512
    .name:           _ZN2at6native12_GLOBAL__N_125multi_tensor_apply_kernelINS1_18TensorListMetadataILi2EEENS1_27BinaryOpScalarTensorFunctorIlLi2ELi1ELi1EEEJSt4plusIlEPllEEEvT_T0_DpT1_
    .private_segment_fixed_size: 0
    .sgpr_count:     27
    .sgpr_spill_count: 0
    .symbol:         _ZN2at6native12_GLOBAL__N_125multi_tensor_apply_kernelINS1_18TensorListMetadataILi2EEENS1_27BinaryOpScalarTensorFunctorIlLi2ELi1ELi1EEEJSt4plusIlEPllEEEvT_T0_DpT1_.kd
    .uniform_work_group_size: 1
    .uses_dynamic_stack: false
    .vgpr_count:     36
    .vgpr_spill_count: 0
    .wavefront_size: 32
    .workgroup_processor_mode: 1
  - .args:
      - .offset:         0
        .size:           3144
        .value_kind:     by_value
      - .offset:         3144
        .size:           1
        .value_kind:     by_value
      - .offset:         3145
        .size:           1
        .value_kind:     by_value
      - .address_space:  global
        .offset:         3152
        .size:           8
        .value_kind:     global_buffer
      - .offset:         3160
        .size:           2
        .value_kind:     by_value
      - .offset:         3168
        .size:           4
        .value_kind:     hidden_block_count_x
      - .offset:         3172
        .size:           4
        .value_kind:     hidden_block_count_y
      - .offset:         3176
        .size:           4
        .value_kind:     hidden_block_count_z
      - .offset:         3180
        .size:           2
        .value_kind:     hidden_group_size_x
      - .offset:         3182
        .size:           2
        .value_kind:     hidden_group_size_y
      - .offset:         3184
        .size:           2
        .value_kind:     hidden_group_size_z
      - .offset:         3186
        .size:           2
        .value_kind:     hidden_remainder_x
      - .offset:         3188
        .size:           2
        .value_kind:     hidden_remainder_y
      - .offset:         3190
        .size:           2
        .value_kind:     hidden_remainder_z
      - .offset:         3208
        .size:           8
        .value_kind:     hidden_global_offset_x
      - .offset:         3216
        .size:           8
        .value_kind:     hidden_global_offset_y
      - .offset:         3224
        .size:           8
        .value_kind:     hidden_global_offset_z
      - .offset:         3232
        .size:           2
        .value_kind:     hidden_grid_dims
    .group_segment_fixed_size: 0
    .kernarg_segment_align: 8
    .kernarg_segment_size: 3424
    .language:       OpenCL C
    .language_version:
      - 2
      - 0
    .max_flat_workgroup_size: 512
    .name:           _ZN2at6native12_GLOBAL__N_125multi_tensor_apply_kernelINS1_18TensorListMetadataILi2EEENS1_27BinaryOpScalarTensorFunctorIsLi2ELi1ELi1EEEJSt4plusIsEPssEEEvT_T0_DpT1_
    .private_segment_fixed_size: 0
    .sgpr_count:     26
    .sgpr_spill_count: 0
    .symbol:         _ZN2at6native12_GLOBAL__N_125multi_tensor_apply_kernelINS1_18TensorListMetadataILi2EEENS1_27BinaryOpScalarTensorFunctorIsLi2ELi1ELi1EEEJSt4plusIsEPssEEEvT_T0_DpT1_.kd
    .uniform_work_group_size: 1
    .uses_dynamic_stack: false
    .vgpr_count:     29
    .vgpr_spill_count: 0
    .wavefront_size: 32
    .workgroup_processor_mode: 1
  - .args:
      - .offset:         0
        .size:           3144
        .value_kind:     by_value
      - .offset:         3144
        .size:           1
        .value_kind:     by_value
      - .offset:         3145
        .size:           1
        .value_kind:     by_value
      - .address_space:  global
        .offset:         3152
        .size:           8
        .value_kind:     global_buffer
      - .offset:         3160
        .size:           8
        .value_kind:     by_value
      - .offset:         3168
        .size:           4
        .value_kind:     hidden_block_count_x
      - .offset:         3172
        .size:           4
        .value_kind:     hidden_block_count_y
      - .offset:         3176
        .size:           4
        .value_kind:     hidden_block_count_z
      - .offset:         3180
        .size:           2
        .value_kind:     hidden_group_size_x
      - .offset:         3182
        .size:           2
        .value_kind:     hidden_group_size_y
      - .offset:         3184
        .size:           2
        .value_kind:     hidden_group_size_z
      - .offset:         3186
        .size:           2
        .value_kind:     hidden_remainder_x
      - .offset:         3188
        .size:           2
        .value_kind:     hidden_remainder_y
      - .offset:         3190
        .size:           2
        .value_kind:     hidden_remainder_z
      - .offset:         3208
        .size:           8
        .value_kind:     hidden_global_offset_x
      - .offset:         3216
        .size:           8
        .value_kind:     hidden_global_offset_y
      - .offset:         3224
        .size:           8
        .value_kind:     hidden_global_offset_z
      - .offset:         3232
        .size:           2
        .value_kind:     hidden_grid_dims
    .group_segment_fixed_size: 0
    .kernarg_segment_align: 8
    .kernarg_segment_size: 3424
    .language:       OpenCL C
    .language_version:
      - 2
      - 0
    .max_flat_workgroup_size: 512
    .name:           _ZN2at6native12_GLOBAL__N_125multi_tensor_apply_kernelINS1_18TensorListMetadataILi2EEENS1_27BinaryOpScalarTensorFunctorIdLi2ELi1ELi1EEEJSt4plusIdEPddEEEvT_T0_DpT1_
    .private_segment_fixed_size: 0
    .sgpr_count:     26
    .sgpr_spill_count: 0
    .symbol:         _ZN2at6native12_GLOBAL__N_125multi_tensor_apply_kernelINS1_18TensorListMetadataILi2EEENS1_27BinaryOpScalarTensorFunctorIdLi2ELi1ELi1EEEJSt4plusIdEPddEEEvT_T0_DpT1_.kd
    .uniform_work_group_size: 1
    .uses_dynamic_stack: false
    .vgpr_count:     36
    .vgpr_spill_count: 0
    .wavefront_size: 32
    .workgroup_processor_mode: 1
  - .args:
      - .offset:         0
        .size:           3144
        .value_kind:     by_value
      - .offset:         3144
        .size:           1
        .value_kind:     by_value
      - .offset:         3145
        .size:           1
        .value_kind:     by_value
      - .address_space:  global
        .offset:         3152
        .size:           8
        .value_kind:     global_buffer
      - .offset:         3160
        .size:           4
        .value_kind:     by_value
      - .offset:         3168
        .size:           4
        .value_kind:     hidden_block_count_x
      - .offset:         3172
        .size:           4
        .value_kind:     hidden_block_count_y
      - .offset:         3176
        .size:           4
        .value_kind:     hidden_block_count_z
      - .offset:         3180
        .size:           2
        .value_kind:     hidden_group_size_x
      - .offset:         3182
        .size:           2
        .value_kind:     hidden_group_size_y
      - .offset:         3184
        .size:           2
        .value_kind:     hidden_group_size_z
      - .offset:         3186
        .size:           2
        .value_kind:     hidden_remainder_x
      - .offset:         3188
        .size:           2
        .value_kind:     hidden_remainder_y
      - .offset:         3190
        .size:           2
        .value_kind:     hidden_remainder_z
      - .offset:         3208
        .size:           8
        .value_kind:     hidden_global_offset_x
      - .offset:         3216
        .size:           8
        .value_kind:     hidden_global_offset_y
      - .offset:         3224
        .size:           8
        .value_kind:     hidden_global_offset_z
      - .offset:         3232
        .size:           2
        .value_kind:     hidden_grid_dims
    .group_segment_fixed_size: 0
    .kernarg_segment_align: 8
    .kernarg_segment_size: 3424
    .language:       OpenCL C
    .language_version:
      - 2
      - 0
    .max_flat_workgroup_size: 512
    .name:           _ZN2at6native12_GLOBAL__N_125multi_tensor_apply_kernelINS1_18TensorListMetadataILi2EEENS1_27BinaryOpScalarTensorFunctorIfLi2ELi1ELi1EEEJSt4plusIfEPffEEEvT_T0_DpT1_
    .private_segment_fixed_size: 0
    .sgpr_count:     26
    .sgpr_spill_count: 0
    .symbol:         _ZN2at6native12_GLOBAL__N_125multi_tensor_apply_kernelINS1_18TensorListMetadataILi2EEENS1_27BinaryOpScalarTensorFunctorIfLi2ELi1ELi1EEEJSt4plusIfEPffEEEvT_T0_DpT1_.kd
    .uniform_work_group_size: 1
    .uses_dynamic_stack: false
    .vgpr_count:     31
    .vgpr_spill_count: 0
    .wavefront_size: 32
    .workgroup_processor_mode: 1
  - .args:
      - .offset:         0
        .size:           3144
        .value_kind:     by_value
      - .offset:         3144
        .size:           1
        .value_kind:     by_value
      - .offset:         3145
        .size:           1
        .value_kind:     by_value
      - .address_space:  global
        .offset:         3152
        .size:           8
        .value_kind:     global_buffer
      - .offset:         3168
        .size:           16
        .value_kind:     by_value
      - .offset:         3184
        .size:           4
        .value_kind:     hidden_block_count_x
      - .offset:         3188
        .size:           4
        .value_kind:     hidden_block_count_y
      - .offset:         3192
        .size:           4
        .value_kind:     hidden_block_count_z
      - .offset:         3196
        .size:           2
        .value_kind:     hidden_group_size_x
      - .offset:         3198
        .size:           2
        .value_kind:     hidden_group_size_y
      - .offset:         3200
        .size:           2
        .value_kind:     hidden_group_size_z
      - .offset:         3202
        .size:           2
        .value_kind:     hidden_remainder_x
      - .offset:         3204
        .size:           2
        .value_kind:     hidden_remainder_y
      - .offset:         3206
        .size:           2
        .value_kind:     hidden_remainder_z
      - .offset:         3224
        .size:           8
        .value_kind:     hidden_global_offset_x
      - .offset:         3232
        .size:           8
        .value_kind:     hidden_global_offset_y
      - .offset:         3240
        .size:           8
        .value_kind:     hidden_global_offset_z
      - .offset:         3248
        .size:           2
        .value_kind:     hidden_grid_dims
    .group_segment_fixed_size: 0
    .kernarg_segment_align: 16
    .kernarg_segment_size: 3440
    .language:       OpenCL C
    .language_version:
      - 2
      - 0
    .max_flat_workgroup_size: 512
    .name:           _ZN2at6native12_GLOBAL__N_125multi_tensor_apply_kernelINS1_18TensorListMetadataILi2EEENS1_27BinaryOpScalarTensorFunctorIN3c107complexIdEELi2ELi1ELi1EEEJSt4plusIS8_EPS8_S8_EEEvT_T0_DpT1_
    .private_segment_fixed_size: 0
    .sgpr_count:     28
    .sgpr_spill_count: 0
    .symbol:         _ZN2at6native12_GLOBAL__N_125multi_tensor_apply_kernelINS1_18TensorListMetadataILi2EEENS1_27BinaryOpScalarTensorFunctorIN3c107complexIdEELi2ELi1ELi1EEEJSt4plusIS8_EPS8_S8_EEEvT_T0_DpT1_.kd
    .uniform_work_group_size: 1
    .uses_dynamic_stack: false
    .vgpr_count:     34
    .vgpr_spill_count: 0
    .wavefront_size: 32
    .workgroup_processor_mode: 1
  - .args:
      - .offset:         0
        .size:           3144
        .value_kind:     by_value
      - .offset:         3144
        .size:           1
        .value_kind:     by_value
      - .offset:         3145
        .size:           1
        .value_kind:     by_value
      - .address_space:  global
        .offset:         3152
        .size:           8
        .value_kind:     global_buffer
      - .offset:         3160
        .size:           8
        .value_kind:     by_value
      - .offset:         3168
        .size:           4
        .value_kind:     hidden_block_count_x
      - .offset:         3172
        .size:           4
        .value_kind:     hidden_block_count_y
      - .offset:         3176
        .size:           4
        .value_kind:     hidden_block_count_z
      - .offset:         3180
        .size:           2
        .value_kind:     hidden_group_size_x
      - .offset:         3182
        .size:           2
        .value_kind:     hidden_group_size_y
      - .offset:         3184
        .size:           2
        .value_kind:     hidden_group_size_z
      - .offset:         3186
        .size:           2
        .value_kind:     hidden_remainder_x
      - .offset:         3188
        .size:           2
        .value_kind:     hidden_remainder_y
      - .offset:         3190
        .size:           2
        .value_kind:     hidden_remainder_z
      - .offset:         3208
        .size:           8
        .value_kind:     hidden_global_offset_x
      - .offset:         3216
        .size:           8
        .value_kind:     hidden_global_offset_y
      - .offset:         3224
        .size:           8
        .value_kind:     hidden_global_offset_z
      - .offset:         3232
        .size:           2
        .value_kind:     hidden_grid_dims
    .group_segment_fixed_size: 0
    .kernarg_segment_align: 8
    .kernarg_segment_size: 3424
    .language:       OpenCL C
    .language_version:
      - 2
      - 0
    .max_flat_workgroup_size: 512
    .name:           _ZN2at6native12_GLOBAL__N_125multi_tensor_apply_kernelINS1_18TensorListMetadataILi2EEENS1_27BinaryOpScalarTensorFunctorIN3c107complexIfEELi2ELi1ELi1EEEJSt4plusIS8_EPS8_S8_EEEvT_T0_DpT1_
    .private_segment_fixed_size: 0
    .sgpr_count:     26
    .sgpr_spill_count: 0
    .symbol:         _ZN2at6native12_GLOBAL__N_125multi_tensor_apply_kernelINS1_18TensorListMetadataILi2EEENS1_27BinaryOpScalarTensorFunctorIN3c107complexIfEELi2ELi1ELi1EEEJSt4plusIS8_EPS8_S8_EEEvT_T0_DpT1_.kd
    .uniform_work_group_size: 1
    .uses_dynamic_stack: false
    .vgpr_count:     22
    .vgpr_spill_count: 0
    .wavefront_size: 32
    .workgroup_processor_mode: 1
  - .args:
      - .offset:         0
        .size:           3144
        .value_kind:     by_value
      - .offset:         3144
        .size:           1
        .value_kind:     by_value
      - .offset:         3145
        .size:           1
        .value_kind:     by_value
      - .address_space:  global
        .offset:         3152
        .size:           8
        .value_kind:     global_buffer
      - .offset:         3160
        .size:           1
        .value_kind:     by_value
      - .offset:         3168
        .size:           4
        .value_kind:     hidden_block_count_x
      - .offset:         3172
        .size:           4
        .value_kind:     hidden_block_count_y
      - .offset:         3176
        .size:           4
        .value_kind:     hidden_block_count_z
      - .offset:         3180
        .size:           2
        .value_kind:     hidden_group_size_x
      - .offset:         3182
        .size:           2
        .value_kind:     hidden_group_size_y
      - .offset:         3184
        .size:           2
        .value_kind:     hidden_group_size_z
      - .offset:         3186
        .size:           2
        .value_kind:     hidden_remainder_x
      - .offset:         3188
        .size:           2
        .value_kind:     hidden_remainder_y
      - .offset:         3190
        .size:           2
        .value_kind:     hidden_remainder_z
      - .offset:         3208
        .size:           8
        .value_kind:     hidden_global_offset_x
      - .offset:         3216
        .size:           8
        .value_kind:     hidden_global_offset_y
      - .offset:         3224
        .size:           8
        .value_kind:     hidden_global_offset_z
      - .offset:         3232
        .size:           2
        .value_kind:     hidden_grid_dims
    .group_segment_fixed_size: 0
    .kernarg_segment_align: 8
    .kernarg_segment_size: 3424
    .language:       OpenCL C
    .language_version:
      - 2
      - 0
    .max_flat_workgroup_size: 512
    .name:           _ZN2at6native12_GLOBAL__N_125multi_tensor_apply_kernelINS1_18TensorListMetadataILi2EEENS1_27BinaryOpScalarTensorFunctorIbLi2ELi1ELi1EEEJSt4plusIbEPbbEEEvT_T0_DpT1_
    .private_segment_fixed_size: 0
    .sgpr_count:     23
    .sgpr_spill_count: 0
    .symbol:         _ZN2at6native12_GLOBAL__N_125multi_tensor_apply_kernelINS1_18TensorListMetadataILi2EEENS1_27BinaryOpScalarTensorFunctorIbLi2ELi1ELi1EEEJSt4plusIbEPbbEEEvT_T0_DpT1_.kd
    .uniform_work_group_size: 1
    .uses_dynamic_stack: false
    .vgpr_count:     31
    .vgpr_spill_count: 0
    .wavefront_size: 32
    .workgroup_processor_mode: 1
  - .args:
      - .offset:         0
        .size:           3144
        .value_kind:     by_value
      - .offset:         3144
        .size:           1
        .value_kind:     by_value
      - .offset:         3145
        .size:           1
        .value_kind:     by_value
      - .address_space:  global
        .offset:         3152
        .size:           8
        .value_kind:     global_buffer
      - .offset:         3160
        .size:           4
        .value_kind:     by_value
      - .offset:         3168
        .size:           4
        .value_kind:     hidden_block_count_x
      - .offset:         3172
        .size:           4
        .value_kind:     hidden_block_count_y
      - .offset:         3176
        .size:           4
        .value_kind:     hidden_block_count_z
      - .offset:         3180
        .size:           2
        .value_kind:     hidden_group_size_x
      - .offset:         3182
        .size:           2
        .value_kind:     hidden_group_size_y
      - .offset:         3184
        .size:           2
        .value_kind:     hidden_group_size_z
      - .offset:         3186
        .size:           2
        .value_kind:     hidden_remainder_x
      - .offset:         3188
        .size:           2
        .value_kind:     hidden_remainder_y
      - .offset:         3190
        .size:           2
        .value_kind:     hidden_remainder_z
      - .offset:         3208
        .size:           8
        .value_kind:     hidden_global_offset_x
      - .offset:         3216
        .size:           8
        .value_kind:     hidden_global_offset_y
      - .offset:         3224
        .size:           8
        .value_kind:     hidden_global_offset_z
      - .offset:         3232
        .size:           2
        .value_kind:     hidden_grid_dims
    .group_segment_fixed_size: 0
    .kernarg_segment_align: 8
    .kernarg_segment_size: 3424
    .language:       OpenCL C
    .language_version:
      - 2
      - 0
    .max_flat_workgroup_size: 512
    .name:           _ZN2at6native12_GLOBAL__N_125multi_tensor_apply_kernelINS1_18TensorListMetadataILi2EEENS1_27BinaryOpScalarTensorFunctorIN3c104HalfELi2ELi1ELi1EEEJSt4plusIfEPS7_fEEEvT_T0_DpT1_
    .private_segment_fixed_size: 0
    .sgpr_count:     26
    .sgpr_spill_count: 0
    .symbol:         _ZN2at6native12_GLOBAL__N_125multi_tensor_apply_kernelINS1_18TensorListMetadataILi2EEENS1_27BinaryOpScalarTensorFunctorIN3c104HalfELi2ELi1ELi1EEEJSt4plusIfEPS7_fEEEvT_T0_DpT1_.kd
    .uniform_work_group_size: 1
    .uses_dynamic_stack: false
    .vgpr_count:     31
    .vgpr_spill_count: 0
    .wavefront_size: 32
    .workgroup_processor_mode: 1
  - .args:
      - .offset:         0
        .size:           3144
        .value_kind:     by_value
      - .offset:         3144
        .size:           1
        .value_kind:     by_value
      - .offset:         3145
        .size:           1
        .value_kind:     by_value
      - .address_space:  global
        .offset:         3152
        .size:           8
        .value_kind:     global_buffer
      - .offset:         3160
        .size:           4
        .value_kind:     by_value
      - .offset:         3168
        .size:           4
        .value_kind:     hidden_block_count_x
      - .offset:         3172
        .size:           4
        .value_kind:     hidden_block_count_y
      - .offset:         3176
        .size:           4
        .value_kind:     hidden_block_count_z
      - .offset:         3180
        .size:           2
        .value_kind:     hidden_group_size_x
      - .offset:         3182
        .size:           2
        .value_kind:     hidden_group_size_y
      - .offset:         3184
        .size:           2
        .value_kind:     hidden_group_size_z
      - .offset:         3186
        .size:           2
        .value_kind:     hidden_remainder_x
      - .offset:         3188
        .size:           2
        .value_kind:     hidden_remainder_y
      - .offset:         3190
        .size:           2
        .value_kind:     hidden_remainder_z
      - .offset:         3208
        .size:           8
        .value_kind:     hidden_global_offset_x
      - .offset:         3216
        .size:           8
        .value_kind:     hidden_global_offset_y
      - .offset:         3224
        .size:           8
        .value_kind:     hidden_global_offset_z
      - .offset:         3232
        .size:           2
        .value_kind:     hidden_grid_dims
    .group_segment_fixed_size: 0
    .kernarg_segment_align: 8
    .kernarg_segment_size: 3424
    .language:       OpenCL C
    .language_version:
      - 2
      - 0
    .max_flat_workgroup_size: 512
    .name:           _ZN2at6native12_GLOBAL__N_125multi_tensor_apply_kernelINS1_18TensorListMetadataILi2EEENS1_27BinaryOpScalarTensorFunctorIN3c108BFloat16ELi2ELi1ELi1EEEJSt4plusIfEPS7_fEEEvT_T0_DpT1_
    .private_segment_fixed_size: 0
    .sgpr_count:     26
    .sgpr_spill_count: 0
    .symbol:         _ZN2at6native12_GLOBAL__N_125multi_tensor_apply_kernelINS1_18TensorListMetadataILi2EEENS1_27BinaryOpScalarTensorFunctorIN3c108BFloat16ELi2ELi1ELi1EEEJSt4plusIfEPS7_fEEEvT_T0_DpT1_.kd
    .uniform_work_group_size: 1
    .uses_dynamic_stack: false
    .vgpr_count:     31
    .vgpr_spill_count: 0
    .wavefront_size: 32
    .workgroup_processor_mode: 1
  - .args:
      - .offset:         0
        .size:           3368
        .value_kind:     by_value
      - .offset:         3368
        .size:           1
        .value_kind:     by_value
      - .offset:         3369
        .size:           1
        .value_kind:     by_value
      - .address_space:  global
        .offset:         3376
        .size:           8
        .value_kind:     global_buffer
      - .offset:         3384
        .size:           1
        .value_kind:     by_value
      - .offset:         3392
        .size:           4
        .value_kind:     hidden_block_count_x
      - .offset:         3396
        .size:           4
        .value_kind:     hidden_block_count_y
      - .offset:         3400
        .size:           4
        .value_kind:     hidden_block_count_z
      - .offset:         3404
        .size:           2
        .value_kind:     hidden_group_size_x
      - .offset:         3406
        .size:           2
        .value_kind:     hidden_group_size_y
      - .offset:         3408
        .size:           2
        .value_kind:     hidden_group_size_z
      - .offset:         3410
        .size:           2
        .value_kind:     hidden_remainder_x
      - .offset:         3412
        .size:           2
        .value_kind:     hidden_remainder_y
      - .offset:         3414
        .size:           2
        .value_kind:     hidden_remainder_z
      - .offset:         3432
        .size:           8
        .value_kind:     hidden_global_offset_x
      - .offset:         3440
        .size:           8
        .value_kind:     hidden_global_offset_y
      - .offset:         3448
        .size:           8
        .value_kind:     hidden_global_offset_z
      - .offset:         3456
        .size:           2
        .value_kind:     hidden_grid_dims
    .group_segment_fixed_size: 0
    .kernarg_segment_align: 8
    .kernarg_segment_size: 3648
    .language:       OpenCL C
    .language_version:
      - 2
      - 0
    .max_flat_workgroup_size: 512
    .name:           _ZN2at6native12_GLOBAL__N_125multi_tensor_apply_kernelINS1_18TensorListMetadataILi1EEENS1_27BinaryOpScalarTensorFunctorIhLi1ELi1ELi0EEEJSt10multipliesIhEPhhEEEvT_T0_DpT1_
    .private_segment_fixed_size: 0
    .sgpr_count:     26
    .sgpr_spill_count: 0
    .symbol:         _ZN2at6native12_GLOBAL__N_125multi_tensor_apply_kernelINS1_18TensorListMetadataILi1EEENS1_27BinaryOpScalarTensorFunctorIhLi1ELi1ELi0EEEJSt10multipliesIhEPhhEEEvT_T0_DpT1_.kd
    .uniform_work_group_size: 1
    .uses_dynamic_stack: false
    .vgpr_count:     21
    .vgpr_spill_count: 0
    .wavefront_size: 32
    .workgroup_processor_mode: 1
  - .args:
      - .offset:         0
        .size:           3368
        .value_kind:     by_value
      - .offset:         3368
        .size:           1
        .value_kind:     by_value
      - .offset:         3369
        .size:           1
        .value_kind:     by_value
      - .address_space:  global
        .offset:         3376
        .size:           8
        .value_kind:     global_buffer
      - .offset:         3384
        .size:           1
        .value_kind:     by_value
      - .offset:         3392
        .size:           4
        .value_kind:     hidden_block_count_x
      - .offset:         3396
        .size:           4
        .value_kind:     hidden_block_count_y
      - .offset:         3400
        .size:           4
        .value_kind:     hidden_block_count_z
      - .offset:         3404
        .size:           2
        .value_kind:     hidden_group_size_x
      - .offset:         3406
        .size:           2
        .value_kind:     hidden_group_size_y
      - .offset:         3408
        .size:           2
        .value_kind:     hidden_group_size_z
      - .offset:         3410
        .size:           2
        .value_kind:     hidden_remainder_x
      - .offset:         3412
        .size:           2
        .value_kind:     hidden_remainder_y
      - .offset:         3414
        .size:           2
        .value_kind:     hidden_remainder_z
      - .offset:         3432
        .size:           8
        .value_kind:     hidden_global_offset_x
      - .offset:         3440
        .size:           8
        .value_kind:     hidden_global_offset_y
      - .offset:         3448
        .size:           8
        .value_kind:     hidden_global_offset_z
      - .offset:         3456
        .size:           2
        .value_kind:     hidden_grid_dims
    .group_segment_fixed_size: 0
    .kernarg_segment_align: 8
    .kernarg_segment_size: 3648
    .language:       OpenCL C
    .language_version:
      - 2
      - 0
    .max_flat_workgroup_size: 512
    .name:           _ZN2at6native12_GLOBAL__N_125multi_tensor_apply_kernelINS1_18TensorListMetadataILi1EEENS1_27BinaryOpScalarTensorFunctorIaLi1ELi1ELi0EEEJSt10multipliesIaEPaaEEEvT_T0_DpT1_
    .private_segment_fixed_size: 0
    .sgpr_count:     26
    .sgpr_spill_count: 0
    .symbol:         _ZN2at6native12_GLOBAL__N_125multi_tensor_apply_kernelINS1_18TensorListMetadataILi1EEENS1_27BinaryOpScalarTensorFunctorIaLi1ELi1ELi0EEEJSt10multipliesIaEPaaEEEvT_T0_DpT1_.kd
    .uniform_work_group_size: 1
    .uses_dynamic_stack: false
    .vgpr_count:     21
    .vgpr_spill_count: 0
    .wavefront_size: 32
    .workgroup_processor_mode: 1
  - .args:
      - .offset:         0
        .size:           3368
        .value_kind:     by_value
      - .offset:         3368
        .size:           1
        .value_kind:     by_value
      - .offset:         3369
        .size:           1
        .value_kind:     by_value
      - .address_space:  global
        .offset:         3376
        .size:           8
        .value_kind:     global_buffer
      - .offset:         3384
        .size:           4
        .value_kind:     by_value
      - .offset:         3392
        .size:           4
        .value_kind:     hidden_block_count_x
      - .offset:         3396
        .size:           4
        .value_kind:     hidden_block_count_y
      - .offset:         3400
        .size:           4
        .value_kind:     hidden_block_count_z
      - .offset:         3404
        .size:           2
        .value_kind:     hidden_group_size_x
      - .offset:         3406
        .size:           2
        .value_kind:     hidden_group_size_y
      - .offset:         3408
        .size:           2
        .value_kind:     hidden_group_size_z
      - .offset:         3410
        .size:           2
        .value_kind:     hidden_remainder_x
      - .offset:         3412
        .size:           2
        .value_kind:     hidden_remainder_y
      - .offset:         3414
        .size:           2
        .value_kind:     hidden_remainder_z
      - .offset:         3432
        .size:           8
        .value_kind:     hidden_global_offset_x
      - .offset:         3440
        .size:           8
        .value_kind:     hidden_global_offset_y
      - .offset:         3448
        .size:           8
        .value_kind:     hidden_global_offset_z
      - .offset:         3456
        .size:           2
        .value_kind:     hidden_grid_dims
    .group_segment_fixed_size: 0
    .kernarg_segment_align: 8
    .kernarg_segment_size: 3648
    .language:       OpenCL C
    .language_version:
      - 2
      - 0
    .max_flat_workgroup_size: 512
    .name:           _ZN2at6native12_GLOBAL__N_125multi_tensor_apply_kernelINS1_18TensorListMetadataILi1EEENS1_27BinaryOpScalarTensorFunctorIiLi1ELi1ELi0EEEJSt10multipliesIiEPiiEEEvT_T0_DpT1_
    .private_segment_fixed_size: 0
    .sgpr_count:     30
    .sgpr_spill_count: 0
    .symbol:         _ZN2at6native12_GLOBAL__N_125multi_tensor_apply_kernelINS1_18TensorListMetadataILi1EEENS1_27BinaryOpScalarTensorFunctorIiLi1ELi1ELi0EEEJSt10multipliesIiEPiiEEEvT_T0_DpT1_.kd
    .uniform_work_group_size: 1
    .uses_dynamic_stack: false
    .vgpr_count:     17
    .vgpr_spill_count: 0
    .wavefront_size: 32
    .workgroup_processor_mode: 1
  - .args:
      - .offset:         0
        .size:           3368
        .value_kind:     by_value
      - .offset:         3368
        .size:           1
        .value_kind:     by_value
      - .offset:         3369
        .size:           1
        .value_kind:     by_value
      - .address_space:  global
        .offset:         3376
        .size:           8
        .value_kind:     global_buffer
      - .offset:         3384
        .size:           8
        .value_kind:     by_value
      - .offset:         3392
        .size:           4
        .value_kind:     hidden_block_count_x
      - .offset:         3396
        .size:           4
        .value_kind:     hidden_block_count_y
      - .offset:         3400
        .size:           4
        .value_kind:     hidden_block_count_z
      - .offset:         3404
        .size:           2
        .value_kind:     hidden_group_size_x
      - .offset:         3406
        .size:           2
        .value_kind:     hidden_group_size_y
      - .offset:         3408
        .size:           2
        .value_kind:     hidden_group_size_z
      - .offset:         3410
        .size:           2
        .value_kind:     hidden_remainder_x
      - .offset:         3412
        .size:           2
        .value_kind:     hidden_remainder_y
      - .offset:         3414
        .size:           2
        .value_kind:     hidden_remainder_z
      - .offset:         3432
        .size:           8
        .value_kind:     hidden_global_offset_x
      - .offset:         3440
        .size:           8
        .value_kind:     hidden_global_offset_y
      - .offset:         3448
        .size:           8
        .value_kind:     hidden_global_offset_z
      - .offset:         3456
        .size:           2
        .value_kind:     hidden_grid_dims
    .group_segment_fixed_size: 0
    .kernarg_segment_align: 8
    .kernarg_segment_size: 3648
    .language:       OpenCL C
    .language_version:
      - 2
      - 0
    .max_flat_workgroup_size: 512
    .name:           _ZN2at6native12_GLOBAL__N_125multi_tensor_apply_kernelINS1_18TensorListMetadataILi1EEENS1_27BinaryOpScalarTensorFunctorIlLi1ELi1ELi0EEEJSt10multipliesIlEPllEEEvT_T0_DpT1_
    .private_segment_fixed_size: 0
    .sgpr_count:     31
    .sgpr_spill_count: 0
    .symbol:         _ZN2at6native12_GLOBAL__N_125multi_tensor_apply_kernelINS1_18TensorListMetadataILi1EEENS1_27BinaryOpScalarTensorFunctorIlLi1ELi1ELi0EEEJSt10multipliesIlEPllEEEvT_T0_DpT1_.kd
    .uniform_work_group_size: 1
    .uses_dynamic_stack: false
    .vgpr_count:     24
    .vgpr_spill_count: 0
    .wavefront_size: 32
    .workgroup_processor_mode: 1
  - .args:
      - .offset:         0
        .size:           3368
        .value_kind:     by_value
      - .offset:         3368
        .size:           1
        .value_kind:     by_value
      - .offset:         3369
        .size:           1
        .value_kind:     by_value
      - .address_space:  global
        .offset:         3376
        .size:           8
        .value_kind:     global_buffer
      - .offset:         3384
        .size:           2
        .value_kind:     by_value
      - .offset:         3392
        .size:           4
        .value_kind:     hidden_block_count_x
      - .offset:         3396
        .size:           4
        .value_kind:     hidden_block_count_y
      - .offset:         3400
        .size:           4
        .value_kind:     hidden_block_count_z
      - .offset:         3404
        .size:           2
        .value_kind:     hidden_group_size_x
      - .offset:         3406
        .size:           2
        .value_kind:     hidden_group_size_y
      - .offset:         3408
        .size:           2
        .value_kind:     hidden_group_size_z
      - .offset:         3410
        .size:           2
        .value_kind:     hidden_remainder_x
      - .offset:         3412
        .size:           2
        .value_kind:     hidden_remainder_y
      - .offset:         3414
        .size:           2
        .value_kind:     hidden_remainder_z
      - .offset:         3432
        .size:           8
        .value_kind:     hidden_global_offset_x
      - .offset:         3440
        .size:           8
        .value_kind:     hidden_global_offset_y
      - .offset:         3448
        .size:           8
        .value_kind:     hidden_global_offset_z
      - .offset:         3456
        .size:           2
        .value_kind:     hidden_grid_dims
    .group_segment_fixed_size: 0
    .kernarg_segment_align: 8
    .kernarg_segment_size: 3648
    .language:       OpenCL C
    .language_version:
      - 2
      - 0
    .max_flat_workgroup_size: 512
    .name:           _ZN2at6native12_GLOBAL__N_125multi_tensor_apply_kernelINS1_18TensorListMetadataILi1EEENS1_27BinaryOpScalarTensorFunctorIsLi1ELi1ELi0EEEJSt10multipliesIsEPssEEEvT_T0_DpT1_
    .private_segment_fixed_size: 0
    .sgpr_count:     29
    .sgpr_spill_count: 0
    .symbol:         _ZN2at6native12_GLOBAL__N_125multi_tensor_apply_kernelINS1_18TensorListMetadataILi1EEENS1_27BinaryOpScalarTensorFunctorIsLi1ELi1ELi0EEEJSt10multipliesIsEPssEEEvT_T0_DpT1_.kd
    .uniform_work_group_size: 1
    .uses_dynamic_stack: false
    .vgpr_count:     16
    .vgpr_spill_count: 0
    .wavefront_size: 32
    .workgroup_processor_mode: 1
  - .args:
      - .offset:         0
        .size:           3368
        .value_kind:     by_value
      - .offset:         3368
        .size:           1
        .value_kind:     by_value
      - .offset:         3369
        .size:           1
        .value_kind:     by_value
      - .address_space:  global
        .offset:         3376
        .size:           8
        .value_kind:     global_buffer
      - .offset:         3384
        .size:           8
        .value_kind:     by_value
      - .offset:         3392
        .size:           4
        .value_kind:     hidden_block_count_x
      - .offset:         3396
        .size:           4
        .value_kind:     hidden_block_count_y
      - .offset:         3400
        .size:           4
        .value_kind:     hidden_block_count_z
      - .offset:         3404
        .size:           2
        .value_kind:     hidden_group_size_x
      - .offset:         3406
        .size:           2
        .value_kind:     hidden_group_size_y
      - .offset:         3408
        .size:           2
        .value_kind:     hidden_group_size_z
      - .offset:         3410
        .size:           2
        .value_kind:     hidden_remainder_x
      - .offset:         3412
        .size:           2
        .value_kind:     hidden_remainder_y
      - .offset:         3414
        .size:           2
        .value_kind:     hidden_remainder_z
      - .offset:         3432
        .size:           8
        .value_kind:     hidden_global_offset_x
      - .offset:         3440
        .size:           8
        .value_kind:     hidden_global_offset_y
      - .offset:         3448
        .size:           8
        .value_kind:     hidden_global_offset_z
      - .offset:         3456
        .size:           2
        .value_kind:     hidden_grid_dims
    .group_segment_fixed_size: 0
    .kernarg_segment_align: 8
    .kernarg_segment_size: 3648
    .language:       OpenCL C
    .language_version:
      - 2
      - 0
    .max_flat_workgroup_size: 512
    .name:           _ZN2at6native12_GLOBAL__N_125multi_tensor_apply_kernelINS1_18TensorListMetadataILi1EEENS1_27BinaryOpScalarTensorFunctorIdLi1ELi1ELi0EEEJSt10multipliesIdEPddEEEvT_T0_DpT1_
    .private_segment_fixed_size: 0
    .sgpr_count:     31
    .sgpr_spill_count: 0
    .symbol:         _ZN2at6native12_GLOBAL__N_125multi_tensor_apply_kernelINS1_18TensorListMetadataILi1EEENS1_27BinaryOpScalarTensorFunctorIdLi1ELi1ELi0EEEJSt10multipliesIdEPddEEEvT_T0_DpT1_.kd
    .uniform_work_group_size: 1
    .uses_dynamic_stack: false
    .vgpr_count:     22
    .vgpr_spill_count: 0
    .wavefront_size: 32
    .workgroup_processor_mode: 1
  - .args:
      - .offset:         0
        .size:           3368
        .value_kind:     by_value
      - .offset:         3368
        .size:           1
        .value_kind:     by_value
      - .offset:         3369
        .size:           1
        .value_kind:     by_value
      - .address_space:  global
        .offset:         3376
        .size:           8
        .value_kind:     global_buffer
      - .offset:         3384
        .size:           4
        .value_kind:     by_value
      - .offset:         3392
        .size:           4
        .value_kind:     hidden_block_count_x
      - .offset:         3396
        .size:           4
        .value_kind:     hidden_block_count_y
      - .offset:         3400
        .size:           4
        .value_kind:     hidden_block_count_z
      - .offset:         3404
        .size:           2
        .value_kind:     hidden_group_size_x
      - .offset:         3406
        .size:           2
        .value_kind:     hidden_group_size_y
      - .offset:         3408
        .size:           2
        .value_kind:     hidden_group_size_z
      - .offset:         3410
        .size:           2
        .value_kind:     hidden_remainder_x
      - .offset:         3412
        .size:           2
        .value_kind:     hidden_remainder_y
      - .offset:         3414
        .size:           2
        .value_kind:     hidden_remainder_z
      - .offset:         3432
        .size:           8
        .value_kind:     hidden_global_offset_x
      - .offset:         3440
        .size:           8
        .value_kind:     hidden_global_offset_y
      - .offset:         3448
        .size:           8
        .value_kind:     hidden_global_offset_z
      - .offset:         3456
        .size:           2
        .value_kind:     hidden_grid_dims
    .group_segment_fixed_size: 0
    .kernarg_segment_align: 8
    .kernarg_segment_size: 3648
    .language:       OpenCL C
    .language_version:
      - 2
      - 0
    .max_flat_workgroup_size: 512
    .name:           _ZN2at6native12_GLOBAL__N_125multi_tensor_apply_kernelINS1_18TensorListMetadataILi1EEENS1_27BinaryOpScalarTensorFunctorIfLi1ELi1ELi0EEEJSt10multipliesIfEPffEEEvT_T0_DpT1_
    .private_segment_fixed_size: 0
    .sgpr_count:     30
    .sgpr_spill_count: 0
    .symbol:         _ZN2at6native12_GLOBAL__N_125multi_tensor_apply_kernelINS1_18TensorListMetadataILi1EEENS1_27BinaryOpScalarTensorFunctorIfLi1ELi1ELi0EEEJSt10multipliesIfEPffEEEvT_T0_DpT1_.kd
    .uniform_work_group_size: 1
    .uses_dynamic_stack: false
    .vgpr_count:     17
    .vgpr_spill_count: 0
    .wavefront_size: 32
    .workgroup_processor_mode: 1
  - .args:
      - .offset:         0
        .size:           3368
        .value_kind:     by_value
      - .offset:         3368
        .size:           1
        .value_kind:     by_value
      - .offset:         3369
        .size:           1
        .value_kind:     by_value
      - .address_space:  global
        .offset:         3376
        .size:           8
        .value_kind:     global_buffer
      - .offset:         3392
        .size:           16
        .value_kind:     by_value
      - .offset:         3408
        .size:           4
        .value_kind:     hidden_block_count_x
      - .offset:         3412
        .size:           4
        .value_kind:     hidden_block_count_y
      - .offset:         3416
        .size:           4
        .value_kind:     hidden_block_count_z
      - .offset:         3420
        .size:           2
        .value_kind:     hidden_group_size_x
      - .offset:         3422
        .size:           2
        .value_kind:     hidden_group_size_y
      - .offset:         3424
        .size:           2
        .value_kind:     hidden_group_size_z
      - .offset:         3426
        .size:           2
        .value_kind:     hidden_remainder_x
      - .offset:         3428
        .size:           2
        .value_kind:     hidden_remainder_y
      - .offset:         3430
        .size:           2
        .value_kind:     hidden_remainder_z
      - .offset:         3448
        .size:           8
        .value_kind:     hidden_global_offset_x
      - .offset:         3456
        .size:           8
        .value_kind:     hidden_global_offset_y
      - .offset:         3464
        .size:           8
        .value_kind:     hidden_global_offset_z
      - .offset:         3472
        .size:           2
        .value_kind:     hidden_grid_dims
    .group_segment_fixed_size: 0
    .kernarg_segment_align: 16
    .kernarg_segment_size: 3664
    .language:       OpenCL C
    .language_version:
      - 2
      - 0
    .max_flat_workgroup_size: 512
    .name:           _ZN2at6native12_GLOBAL__N_125multi_tensor_apply_kernelINS1_18TensorListMetadataILi1EEENS1_27BinaryOpScalarTensorFunctorIN3c107complexIdEELi1ELi1ELi0EEEJSt10multipliesIS8_EPS8_S8_EEEvT_T0_DpT1_
    .private_segment_fixed_size: 0
    .sgpr_count:     33
    .sgpr_spill_count: 0
    .symbol:         _ZN2at6native12_GLOBAL__N_125multi_tensor_apply_kernelINS1_18TensorListMetadataILi1EEENS1_27BinaryOpScalarTensorFunctorIN3c107complexIdEELi1ELi1ELi0EEEJSt10multipliesIS8_EPS8_S8_EEEvT_T0_DpT1_.kd
    .uniform_work_group_size: 1
    .uses_dynamic_stack: false
    .vgpr_count:     39
    .vgpr_spill_count: 0
    .wavefront_size: 32
    .workgroup_processor_mode: 1
  - .args:
      - .offset:         0
        .size:           3368
        .value_kind:     by_value
      - .offset:         3368
        .size:           1
        .value_kind:     by_value
      - .offset:         3369
        .size:           1
        .value_kind:     by_value
      - .address_space:  global
        .offset:         3376
        .size:           8
        .value_kind:     global_buffer
      - .offset:         3384
        .size:           8
        .value_kind:     by_value
      - .offset:         3392
        .size:           4
        .value_kind:     hidden_block_count_x
      - .offset:         3396
        .size:           4
        .value_kind:     hidden_block_count_y
      - .offset:         3400
        .size:           4
        .value_kind:     hidden_block_count_z
      - .offset:         3404
        .size:           2
        .value_kind:     hidden_group_size_x
      - .offset:         3406
        .size:           2
        .value_kind:     hidden_group_size_y
      - .offset:         3408
        .size:           2
        .value_kind:     hidden_group_size_z
      - .offset:         3410
        .size:           2
        .value_kind:     hidden_remainder_x
      - .offset:         3412
        .size:           2
        .value_kind:     hidden_remainder_y
      - .offset:         3414
        .size:           2
        .value_kind:     hidden_remainder_z
      - .offset:         3432
        .size:           8
        .value_kind:     hidden_global_offset_x
      - .offset:         3440
        .size:           8
        .value_kind:     hidden_global_offset_y
      - .offset:         3448
        .size:           8
        .value_kind:     hidden_global_offset_z
      - .offset:         3456
        .size:           2
        .value_kind:     hidden_grid_dims
    .group_segment_fixed_size: 0
    .kernarg_segment_align: 8
    .kernarg_segment_size: 3648
    .language:       OpenCL C
    .language_version:
      - 2
      - 0
    .max_flat_workgroup_size: 512
    .name:           _ZN2at6native12_GLOBAL__N_125multi_tensor_apply_kernelINS1_18TensorListMetadataILi1EEENS1_27BinaryOpScalarTensorFunctorIN3c107complexIfEELi1ELi1ELi0EEEJSt10multipliesIS8_EPS8_S8_EEEvT_T0_DpT1_
    .private_segment_fixed_size: 0
    .sgpr_count:     31
    .sgpr_spill_count: 0
    .symbol:         _ZN2at6native12_GLOBAL__N_125multi_tensor_apply_kernelINS1_18TensorListMetadataILi1EEENS1_27BinaryOpScalarTensorFunctorIN3c107complexIfEELi1ELi1ELi0EEEJSt10multipliesIS8_EPS8_S8_EEEvT_T0_DpT1_.kd
    .uniform_work_group_size: 1
    .uses_dynamic_stack: false
    .vgpr_count:     28
    .vgpr_spill_count: 0
    .wavefront_size: 32
    .workgroup_processor_mode: 1
  - .args:
      - .offset:         0
        .size:           3368
        .value_kind:     by_value
      - .offset:         3368
        .size:           1
        .value_kind:     by_value
      - .offset:         3369
        .size:           1
        .value_kind:     by_value
      - .address_space:  global
        .offset:         3376
        .size:           8
        .value_kind:     global_buffer
      - .offset:         3384
        .size:           1
        .value_kind:     by_value
      - .offset:         3392
        .size:           4
        .value_kind:     hidden_block_count_x
      - .offset:         3396
        .size:           4
        .value_kind:     hidden_block_count_y
      - .offset:         3400
        .size:           4
        .value_kind:     hidden_block_count_z
      - .offset:         3404
        .size:           2
        .value_kind:     hidden_group_size_x
      - .offset:         3406
        .size:           2
        .value_kind:     hidden_group_size_y
      - .offset:         3408
        .size:           2
        .value_kind:     hidden_group_size_z
      - .offset:         3410
        .size:           2
        .value_kind:     hidden_remainder_x
      - .offset:         3412
        .size:           2
        .value_kind:     hidden_remainder_y
      - .offset:         3414
        .size:           2
        .value_kind:     hidden_remainder_z
      - .offset:         3432
        .size:           8
        .value_kind:     hidden_global_offset_x
      - .offset:         3440
        .size:           8
        .value_kind:     hidden_global_offset_y
      - .offset:         3448
        .size:           8
        .value_kind:     hidden_global_offset_z
      - .offset:         3456
        .size:           2
        .value_kind:     hidden_grid_dims
    .group_segment_fixed_size: 0
    .kernarg_segment_align: 8
    .kernarg_segment_size: 3648
    .language:       OpenCL C
    .language_version:
      - 2
      - 0
    .max_flat_workgroup_size: 512
    .name:           _ZN2at6native12_GLOBAL__N_125multi_tensor_apply_kernelINS1_18TensorListMetadataILi1EEENS1_27BinaryOpScalarTensorFunctorIbLi1ELi1ELi0EEEJSt10multipliesIbEPbbEEEvT_T0_DpT1_
    .private_segment_fixed_size: 0
    .sgpr_count:     27
    .sgpr_spill_count: 0
    .symbol:         _ZN2at6native12_GLOBAL__N_125multi_tensor_apply_kernelINS1_18TensorListMetadataILi1EEENS1_27BinaryOpScalarTensorFunctorIbLi1ELi1ELi0EEEJSt10multipliesIbEPbbEEEvT_T0_DpT1_.kd
    .uniform_work_group_size: 1
    .uses_dynamic_stack: false
    .vgpr_count:     22
    .vgpr_spill_count: 0
    .wavefront_size: 32
    .workgroup_processor_mode: 1
  - .args:
      - .offset:         0
        .size:           3368
        .value_kind:     by_value
      - .offset:         3368
        .size:           1
        .value_kind:     by_value
      - .offset:         3369
        .size:           1
        .value_kind:     by_value
      - .address_space:  global
        .offset:         3376
        .size:           8
        .value_kind:     global_buffer
      - .offset:         3384
        .size:           4
        .value_kind:     by_value
      - .offset:         3392
        .size:           4
        .value_kind:     hidden_block_count_x
      - .offset:         3396
        .size:           4
        .value_kind:     hidden_block_count_y
      - .offset:         3400
        .size:           4
        .value_kind:     hidden_block_count_z
      - .offset:         3404
        .size:           2
        .value_kind:     hidden_group_size_x
      - .offset:         3406
        .size:           2
        .value_kind:     hidden_group_size_y
      - .offset:         3408
        .size:           2
        .value_kind:     hidden_group_size_z
      - .offset:         3410
        .size:           2
        .value_kind:     hidden_remainder_x
      - .offset:         3412
        .size:           2
        .value_kind:     hidden_remainder_y
      - .offset:         3414
        .size:           2
        .value_kind:     hidden_remainder_z
      - .offset:         3432
        .size:           8
        .value_kind:     hidden_global_offset_x
      - .offset:         3440
        .size:           8
        .value_kind:     hidden_global_offset_y
      - .offset:         3448
        .size:           8
        .value_kind:     hidden_global_offset_z
      - .offset:         3456
        .size:           2
        .value_kind:     hidden_grid_dims
    .group_segment_fixed_size: 0
    .kernarg_segment_align: 8
    .kernarg_segment_size: 3648
    .language:       OpenCL C
    .language_version:
      - 2
      - 0
    .max_flat_workgroup_size: 512
    .name:           _ZN2at6native12_GLOBAL__N_125multi_tensor_apply_kernelINS1_18TensorListMetadataILi1EEENS1_27BinaryOpScalarTensorFunctorIN3c104HalfELi1ELi1ELi0EEEJSt10multipliesIfEPS7_fEEEvT_T0_DpT1_
    .private_segment_fixed_size: 0
    .sgpr_count:     29
    .sgpr_spill_count: 0
    .symbol:         _ZN2at6native12_GLOBAL__N_125multi_tensor_apply_kernelINS1_18TensorListMetadataILi1EEENS1_27BinaryOpScalarTensorFunctorIN3c104HalfELi1ELi1ELi0EEEJSt10multipliesIfEPS7_fEEEvT_T0_DpT1_.kd
    .uniform_work_group_size: 1
    .uses_dynamic_stack: false
    .vgpr_count:     17
    .vgpr_spill_count: 0
    .wavefront_size: 32
    .workgroup_processor_mode: 1
  - .args:
      - .offset:         0
        .size:           3368
        .value_kind:     by_value
      - .offset:         3368
        .size:           1
        .value_kind:     by_value
      - .offset:         3369
        .size:           1
        .value_kind:     by_value
      - .address_space:  global
        .offset:         3376
        .size:           8
        .value_kind:     global_buffer
      - .offset:         3384
        .size:           4
        .value_kind:     by_value
      - .offset:         3392
        .size:           4
        .value_kind:     hidden_block_count_x
      - .offset:         3396
        .size:           4
        .value_kind:     hidden_block_count_y
      - .offset:         3400
        .size:           4
        .value_kind:     hidden_block_count_z
      - .offset:         3404
        .size:           2
        .value_kind:     hidden_group_size_x
      - .offset:         3406
        .size:           2
        .value_kind:     hidden_group_size_y
      - .offset:         3408
        .size:           2
        .value_kind:     hidden_group_size_z
      - .offset:         3410
        .size:           2
        .value_kind:     hidden_remainder_x
      - .offset:         3412
        .size:           2
        .value_kind:     hidden_remainder_y
      - .offset:         3414
        .size:           2
        .value_kind:     hidden_remainder_z
      - .offset:         3432
        .size:           8
        .value_kind:     hidden_global_offset_x
      - .offset:         3440
        .size:           8
        .value_kind:     hidden_global_offset_y
      - .offset:         3448
        .size:           8
        .value_kind:     hidden_global_offset_z
      - .offset:         3456
        .size:           2
        .value_kind:     hidden_grid_dims
    .group_segment_fixed_size: 0
    .kernarg_segment_align: 8
    .kernarg_segment_size: 3648
    .language:       OpenCL C
    .language_version:
      - 2
      - 0
    .max_flat_workgroup_size: 512
    .name:           _ZN2at6native12_GLOBAL__N_125multi_tensor_apply_kernelINS1_18TensorListMetadataILi1EEENS1_27BinaryOpScalarTensorFunctorIN3c108BFloat16ELi1ELi1ELi0EEEJSt10multipliesIfEPS7_fEEEvT_T0_DpT1_
    .private_segment_fixed_size: 0
    .sgpr_count:     29
    .sgpr_spill_count: 0
    .symbol:         _ZN2at6native12_GLOBAL__N_125multi_tensor_apply_kernelINS1_18TensorListMetadataILi1EEENS1_27BinaryOpScalarTensorFunctorIN3c108BFloat16ELi1ELi1ELi0EEEJSt10multipliesIfEPS7_fEEEvT_T0_DpT1_.kd
    .uniform_work_group_size: 1
    .uses_dynamic_stack: false
    .vgpr_count:     18
    .vgpr_spill_count: 0
    .wavefront_size: 32
    .workgroup_processor_mode: 1
  - .args:
      - .offset:         0
        .size:           3144
        .value_kind:     by_value
      - .offset:         3144
        .size:           1
        .value_kind:     by_value
      - .offset:         3145
        .size:           1
        .value_kind:     by_value
      - .address_space:  global
        .offset:         3152
        .size:           8
        .value_kind:     global_buffer
      - .offset:         3160
        .size:           1
        .value_kind:     by_value
      - .offset:         3168
        .size:           4
        .value_kind:     hidden_block_count_x
      - .offset:         3172
        .size:           4
        .value_kind:     hidden_block_count_y
      - .offset:         3176
        .size:           4
        .value_kind:     hidden_block_count_z
      - .offset:         3180
        .size:           2
        .value_kind:     hidden_group_size_x
      - .offset:         3182
        .size:           2
        .value_kind:     hidden_group_size_y
      - .offset:         3184
        .size:           2
        .value_kind:     hidden_group_size_z
      - .offset:         3186
        .size:           2
        .value_kind:     hidden_remainder_x
      - .offset:         3188
        .size:           2
        .value_kind:     hidden_remainder_y
      - .offset:         3190
        .size:           2
        .value_kind:     hidden_remainder_z
      - .offset:         3208
        .size:           8
        .value_kind:     hidden_global_offset_x
      - .offset:         3216
        .size:           8
        .value_kind:     hidden_global_offset_y
      - .offset:         3224
        .size:           8
        .value_kind:     hidden_global_offset_z
      - .offset:         3232
        .size:           2
        .value_kind:     hidden_grid_dims
    .group_segment_fixed_size: 0
    .kernarg_segment_align: 8
    .kernarg_segment_size: 3424
    .language:       OpenCL C
    .language_version:
      - 2
      - 0
    .max_flat_workgroup_size: 512
    .name:           _ZN2at6native12_GLOBAL__N_125multi_tensor_apply_kernelINS1_18TensorListMetadataILi2EEENS1_27BinaryOpScalarTensorFunctorIhLi2ELi1ELi1EEEJSt10multipliesIhEPhhEEEvT_T0_DpT1_
    .private_segment_fixed_size: 0
    .sgpr_count:     23
    .sgpr_spill_count: 0
    .symbol:         _ZN2at6native12_GLOBAL__N_125multi_tensor_apply_kernelINS1_18TensorListMetadataILi2EEENS1_27BinaryOpScalarTensorFunctorIhLi2ELi1ELi1EEEJSt10multipliesIhEPhhEEEvT_T0_DpT1_.kd
    .uniform_work_group_size: 1
    .uses_dynamic_stack: false
    .vgpr_count:     29
    .vgpr_spill_count: 0
    .wavefront_size: 32
    .workgroup_processor_mode: 1
  - .args:
      - .offset:         0
        .size:           3144
        .value_kind:     by_value
      - .offset:         3144
        .size:           1
        .value_kind:     by_value
      - .offset:         3145
        .size:           1
        .value_kind:     by_value
      - .address_space:  global
        .offset:         3152
        .size:           8
        .value_kind:     global_buffer
      - .offset:         3160
        .size:           1
        .value_kind:     by_value
      - .offset:         3168
        .size:           4
        .value_kind:     hidden_block_count_x
      - .offset:         3172
        .size:           4
        .value_kind:     hidden_block_count_y
      - .offset:         3176
        .size:           4
        .value_kind:     hidden_block_count_z
      - .offset:         3180
        .size:           2
        .value_kind:     hidden_group_size_x
      - .offset:         3182
        .size:           2
        .value_kind:     hidden_group_size_y
      - .offset:         3184
        .size:           2
        .value_kind:     hidden_group_size_z
      - .offset:         3186
        .size:           2
        .value_kind:     hidden_remainder_x
      - .offset:         3188
        .size:           2
        .value_kind:     hidden_remainder_y
      - .offset:         3190
        .size:           2
        .value_kind:     hidden_remainder_z
      - .offset:         3208
        .size:           8
        .value_kind:     hidden_global_offset_x
      - .offset:         3216
        .size:           8
        .value_kind:     hidden_global_offset_y
      - .offset:         3224
        .size:           8
        .value_kind:     hidden_global_offset_z
      - .offset:         3232
        .size:           2
        .value_kind:     hidden_grid_dims
    .group_segment_fixed_size: 0
    .kernarg_segment_align: 8
    .kernarg_segment_size: 3424
    .language:       OpenCL C
    .language_version:
      - 2
      - 0
    .max_flat_workgroup_size: 512
    .name:           _ZN2at6native12_GLOBAL__N_125multi_tensor_apply_kernelINS1_18TensorListMetadataILi2EEENS1_27BinaryOpScalarTensorFunctorIaLi2ELi1ELi1EEEJSt10multipliesIaEPaaEEEvT_T0_DpT1_
    .private_segment_fixed_size: 0
    .sgpr_count:     23
    .sgpr_spill_count: 0
    .symbol:         _ZN2at6native12_GLOBAL__N_125multi_tensor_apply_kernelINS1_18TensorListMetadataILi2EEENS1_27BinaryOpScalarTensorFunctorIaLi2ELi1ELi1EEEJSt10multipliesIaEPaaEEEvT_T0_DpT1_.kd
    .uniform_work_group_size: 1
    .uses_dynamic_stack: false
    .vgpr_count:     29
    .vgpr_spill_count: 0
    .wavefront_size: 32
    .workgroup_processor_mode: 1
  - .args:
      - .offset:         0
        .size:           3144
        .value_kind:     by_value
      - .offset:         3144
        .size:           1
        .value_kind:     by_value
      - .offset:         3145
        .size:           1
        .value_kind:     by_value
      - .address_space:  global
        .offset:         3152
        .size:           8
        .value_kind:     global_buffer
      - .offset:         3160
        .size:           4
        .value_kind:     by_value
      - .offset:         3168
        .size:           4
        .value_kind:     hidden_block_count_x
      - .offset:         3172
        .size:           4
        .value_kind:     hidden_block_count_y
      - .offset:         3176
        .size:           4
        .value_kind:     hidden_block_count_z
      - .offset:         3180
        .size:           2
        .value_kind:     hidden_group_size_x
      - .offset:         3182
        .size:           2
        .value_kind:     hidden_group_size_y
      - .offset:         3184
        .size:           2
        .value_kind:     hidden_group_size_z
      - .offset:         3186
        .size:           2
        .value_kind:     hidden_remainder_x
      - .offset:         3188
        .size:           2
        .value_kind:     hidden_remainder_y
      - .offset:         3190
        .size:           2
        .value_kind:     hidden_remainder_z
      - .offset:         3208
        .size:           8
        .value_kind:     hidden_global_offset_x
      - .offset:         3216
        .size:           8
        .value_kind:     hidden_global_offset_y
      - .offset:         3224
        .size:           8
        .value_kind:     hidden_global_offset_z
      - .offset:         3232
        .size:           2
        .value_kind:     hidden_grid_dims
    .group_segment_fixed_size: 0
    .kernarg_segment_align: 8
    .kernarg_segment_size: 3424
    .language:       OpenCL C
    .language_version:
      - 2
      - 0
    .max_flat_workgroup_size: 512
    .name:           _ZN2at6native12_GLOBAL__N_125multi_tensor_apply_kernelINS1_18TensorListMetadataILi2EEENS1_27BinaryOpScalarTensorFunctorIiLi2ELi1ELi1EEEJSt10multipliesIiEPiiEEEvT_T0_DpT1_
    .private_segment_fixed_size: 0
    .sgpr_count:     26
    .sgpr_spill_count: 0
    .symbol:         _ZN2at6native12_GLOBAL__N_125multi_tensor_apply_kernelINS1_18TensorListMetadataILi2EEENS1_27BinaryOpScalarTensorFunctorIiLi2ELi1ELi1EEEJSt10multipliesIiEPiiEEEvT_T0_DpT1_.kd
    .uniform_work_group_size: 1
    .uses_dynamic_stack: false
    .vgpr_count:     31
    .vgpr_spill_count: 0
    .wavefront_size: 32
    .workgroup_processor_mode: 1
  - .args:
      - .offset:         0
        .size:           3144
        .value_kind:     by_value
      - .offset:         3144
        .size:           1
        .value_kind:     by_value
      - .offset:         3145
        .size:           1
        .value_kind:     by_value
      - .address_space:  global
        .offset:         3152
        .size:           8
        .value_kind:     global_buffer
      - .offset:         3160
        .size:           8
        .value_kind:     by_value
      - .offset:         3168
        .size:           4
        .value_kind:     hidden_block_count_x
      - .offset:         3172
        .size:           4
        .value_kind:     hidden_block_count_y
      - .offset:         3176
        .size:           4
        .value_kind:     hidden_block_count_z
      - .offset:         3180
        .size:           2
        .value_kind:     hidden_group_size_x
      - .offset:         3182
        .size:           2
        .value_kind:     hidden_group_size_y
      - .offset:         3184
        .size:           2
        .value_kind:     hidden_group_size_z
      - .offset:         3186
        .size:           2
        .value_kind:     hidden_remainder_x
      - .offset:         3188
        .size:           2
        .value_kind:     hidden_remainder_y
      - .offset:         3190
        .size:           2
        .value_kind:     hidden_remainder_z
      - .offset:         3208
        .size:           8
        .value_kind:     hidden_global_offset_x
      - .offset:         3216
        .size:           8
        .value_kind:     hidden_global_offset_y
      - .offset:         3224
        .size:           8
        .value_kind:     hidden_global_offset_z
      - .offset:         3232
        .size:           2
        .value_kind:     hidden_grid_dims
    .group_segment_fixed_size: 0
    .kernarg_segment_align: 8
    .kernarg_segment_size: 3424
    .language:       OpenCL C
    .language_version:
      - 2
      - 0
    .max_flat_workgroup_size: 512
    .name:           _ZN2at6native12_GLOBAL__N_125multi_tensor_apply_kernelINS1_18TensorListMetadataILi2EEENS1_27BinaryOpScalarTensorFunctorIlLi2ELi1ELi1EEEJSt10multipliesIlEPllEEEvT_T0_DpT1_
    .private_segment_fixed_size: 0
    .sgpr_count:     26
    .sgpr_spill_count: 0
    .symbol:         _ZN2at6native12_GLOBAL__N_125multi_tensor_apply_kernelINS1_18TensorListMetadataILi2EEENS1_27BinaryOpScalarTensorFunctorIlLi2ELi1ELi1EEEJSt10multipliesIlEPllEEEvT_T0_DpT1_.kd
    .uniform_work_group_size: 1
    .uses_dynamic_stack: false
    .vgpr_count:     36
    .vgpr_spill_count: 0
    .wavefront_size: 32
    .workgroup_processor_mode: 1
  - .args:
      - .offset:         0
        .size:           3144
        .value_kind:     by_value
      - .offset:         3144
        .size:           1
        .value_kind:     by_value
      - .offset:         3145
        .size:           1
        .value_kind:     by_value
      - .address_space:  global
        .offset:         3152
        .size:           8
        .value_kind:     global_buffer
      - .offset:         3160
        .size:           2
        .value_kind:     by_value
      - .offset:         3168
        .size:           4
        .value_kind:     hidden_block_count_x
      - .offset:         3172
        .size:           4
        .value_kind:     hidden_block_count_y
      - .offset:         3176
        .size:           4
        .value_kind:     hidden_block_count_z
      - .offset:         3180
        .size:           2
        .value_kind:     hidden_group_size_x
      - .offset:         3182
        .size:           2
        .value_kind:     hidden_group_size_y
      - .offset:         3184
        .size:           2
        .value_kind:     hidden_group_size_z
      - .offset:         3186
        .size:           2
        .value_kind:     hidden_remainder_x
      - .offset:         3188
        .size:           2
        .value_kind:     hidden_remainder_y
      - .offset:         3190
        .size:           2
        .value_kind:     hidden_remainder_z
      - .offset:         3208
        .size:           8
        .value_kind:     hidden_global_offset_x
      - .offset:         3216
        .size:           8
        .value_kind:     hidden_global_offset_y
      - .offset:         3224
        .size:           8
        .value_kind:     hidden_global_offset_z
      - .offset:         3232
        .size:           2
        .value_kind:     hidden_grid_dims
    .group_segment_fixed_size: 0
    .kernarg_segment_align: 8
    .kernarg_segment_size: 3424
    .language:       OpenCL C
    .language_version:
      - 2
      - 0
    .max_flat_workgroup_size: 512
    .name:           _ZN2at6native12_GLOBAL__N_125multi_tensor_apply_kernelINS1_18TensorListMetadataILi2EEENS1_27BinaryOpScalarTensorFunctorIsLi2ELi1ELi1EEEJSt10multipliesIsEPssEEEvT_T0_DpT1_
    .private_segment_fixed_size: 0
    .sgpr_count:     26
    .sgpr_spill_count: 0
    .symbol:         _ZN2at6native12_GLOBAL__N_125multi_tensor_apply_kernelINS1_18TensorListMetadataILi2EEENS1_27BinaryOpScalarTensorFunctorIsLi2ELi1ELi1EEEJSt10multipliesIsEPssEEEvT_T0_DpT1_.kd
    .uniform_work_group_size: 1
    .uses_dynamic_stack: false
    .vgpr_count:     29
    .vgpr_spill_count: 0
    .wavefront_size: 32
    .workgroup_processor_mode: 1
  - .args:
      - .offset:         0
        .size:           3144
        .value_kind:     by_value
      - .offset:         3144
        .size:           1
        .value_kind:     by_value
      - .offset:         3145
        .size:           1
        .value_kind:     by_value
      - .address_space:  global
        .offset:         3152
        .size:           8
        .value_kind:     global_buffer
      - .offset:         3160
        .size:           8
        .value_kind:     by_value
      - .offset:         3168
        .size:           4
        .value_kind:     hidden_block_count_x
      - .offset:         3172
        .size:           4
        .value_kind:     hidden_block_count_y
      - .offset:         3176
        .size:           4
        .value_kind:     hidden_block_count_z
      - .offset:         3180
        .size:           2
        .value_kind:     hidden_group_size_x
      - .offset:         3182
        .size:           2
        .value_kind:     hidden_group_size_y
      - .offset:         3184
        .size:           2
        .value_kind:     hidden_group_size_z
      - .offset:         3186
        .size:           2
        .value_kind:     hidden_remainder_x
      - .offset:         3188
        .size:           2
        .value_kind:     hidden_remainder_y
      - .offset:         3190
        .size:           2
        .value_kind:     hidden_remainder_z
      - .offset:         3208
        .size:           8
        .value_kind:     hidden_global_offset_x
      - .offset:         3216
        .size:           8
        .value_kind:     hidden_global_offset_y
      - .offset:         3224
        .size:           8
        .value_kind:     hidden_global_offset_z
      - .offset:         3232
        .size:           2
        .value_kind:     hidden_grid_dims
    .group_segment_fixed_size: 0
    .kernarg_segment_align: 8
    .kernarg_segment_size: 3424
    .language:       OpenCL C
    .language_version:
      - 2
      - 0
    .max_flat_workgroup_size: 512
    .name:           _ZN2at6native12_GLOBAL__N_125multi_tensor_apply_kernelINS1_18TensorListMetadataILi2EEENS1_27BinaryOpScalarTensorFunctorIdLi2ELi1ELi1EEEJSt10multipliesIdEPddEEEvT_T0_DpT1_
    .private_segment_fixed_size: 0
    .sgpr_count:     26
    .sgpr_spill_count: 0
    .symbol:         _ZN2at6native12_GLOBAL__N_125multi_tensor_apply_kernelINS1_18TensorListMetadataILi2EEENS1_27BinaryOpScalarTensorFunctorIdLi2ELi1ELi1EEEJSt10multipliesIdEPddEEEvT_T0_DpT1_.kd
    .uniform_work_group_size: 1
    .uses_dynamic_stack: false
    .vgpr_count:     36
    .vgpr_spill_count: 0
    .wavefront_size: 32
    .workgroup_processor_mode: 1
  - .args:
      - .offset:         0
        .size:           3144
        .value_kind:     by_value
      - .offset:         3144
        .size:           1
        .value_kind:     by_value
      - .offset:         3145
        .size:           1
        .value_kind:     by_value
      - .address_space:  global
        .offset:         3152
        .size:           8
        .value_kind:     global_buffer
      - .offset:         3160
        .size:           4
        .value_kind:     by_value
      - .offset:         3168
        .size:           4
        .value_kind:     hidden_block_count_x
      - .offset:         3172
        .size:           4
        .value_kind:     hidden_block_count_y
      - .offset:         3176
        .size:           4
        .value_kind:     hidden_block_count_z
      - .offset:         3180
        .size:           2
        .value_kind:     hidden_group_size_x
      - .offset:         3182
        .size:           2
        .value_kind:     hidden_group_size_y
      - .offset:         3184
        .size:           2
        .value_kind:     hidden_group_size_z
      - .offset:         3186
        .size:           2
        .value_kind:     hidden_remainder_x
      - .offset:         3188
        .size:           2
        .value_kind:     hidden_remainder_y
      - .offset:         3190
        .size:           2
        .value_kind:     hidden_remainder_z
      - .offset:         3208
        .size:           8
        .value_kind:     hidden_global_offset_x
      - .offset:         3216
        .size:           8
        .value_kind:     hidden_global_offset_y
      - .offset:         3224
        .size:           8
        .value_kind:     hidden_global_offset_z
      - .offset:         3232
        .size:           2
        .value_kind:     hidden_grid_dims
    .group_segment_fixed_size: 0
    .kernarg_segment_align: 8
    .kernarg_segment_size: 3424
    .language:       OpenCL C
    .language_version:
      - 2
      - 0
    .max_flat_workgroup_size: 512
    .name:           _ZN2at6native12_GLOBAL__N_125multi_tensor_apply_kernelINS1_18TensorListMetadataILi2EEENS1_27BinaryOpScalarTensorFunctorIfLi2ELi1ELi1EEEJSt10multipliesIfEPffEEEvT_T0_DpT1_
    .private_segment_fixed_size: 0
    .sgpr_count:     26
    .sgpr_spill_count: 0
    .symbol:         _ZN2at6native12_GLOBAL__N_125multi_tensor_apply_kernelINS1_18TensorListMetadataILi2EEENS1_27BinaryOpScalarTensorFunctorIfLi2ELi1ELi1EEEJSt10multipliesIfEPffEEEvT_T0_DpT1_.kd
    .uniform_work_group_size: 1
    .uses_dynamic_stack: false
    .vgpr_count:     31
    .vgpr_spill_count: 0
    .wavefront_size: 32
    .workgroup_processor_mode: 1
  - .args:
      - .offset:         0
        .size:           3144
        .value_kind:     by_value
      - .offset:         3144
        .size:           1
        .value_kind:     by_value
      - .offset:         3145
        .size:           1
        .value_kind:     by_value
      - .address_space:  global
        .offset:         3152
        .size:           8
        .value_kind:     global_buffer
      - .offset:         3168
        .size:           16
        .value_kind:     by_value
      - .offset:         3184
        .size:           4
        .value_kind:     hidden_block_count_x
      - .offset:         3188
        .size:           4
        .value_kind:     hidden_block_count_y
      - .offset:         3192
        .size:           4
        .value_kind:     hidden_block_count_z
      - .offset:         3196
        .size:           2
        .value_kind:     hidden_group_size_x
      - .offset:         3198
        .size:           2
        .value_kind:     hidden_group_size_y
      - .offset:         3200
        .size:           2
        .value_kind:     hidden_group_size_z
      - .offset:         3202
        .size:           2
        .value_kind:     hidden_remainder_x
      - .offset:         3204
        .size:           2
        .value_kind:     hidden_remainder_y
      - .offset:         3206
        .size:           2
        .value_kind:     hidden_remainder_z
      - .offset:         3224
        .size:           8
        .value_kind:     hidden_global_offset_x
      - .offset:         3232
        .size:           8
        .value_kind:     hidden_global_offset_y
      - .offset:         3240
        .size:           8
        .value_kind:     hidden_global_offset_z
      - .offset:         3248
        .size:           2
        .value_kind:     hidden_grid_dims
    .group_segment_fixed_size: 0
    .kernarg_segment_align: 16
    .kernarg_segment_size: 3440
    .language:       OpenCL C
    .language_version:
      - 2
      - 0
    .max_flat_workgroup_size: 512
    .name:           _ZN2at6native12_GLOBAL__N_125multi_tensor_apply_kernelINS1_18TensorListMetadataILi2EEENS1_27BinaryOpScalarTensorFunctorIN3c107complexIdEELi2ELi1ELi1EEEJSt10multipliesIS8_EPS8_S8_EEEvT_T0_DpT1_
    .private_segment_fixed_size: 0
    .sgpr_count:     28
    .sgpr_spill_count: 0
    .symbol:         _ZN2at6native12_GLOBAL__N_125multi_tensor_apply_kernelINS1_18TensorListMetadataILi2EEENS1_27BinaryOpScalarTensorFunctorIN3c107complexIdEELi2ELi1ELi1EEEJSt10multipliesIS8_EPS8_S8_EEEvT_T0_DpT1_.kd
    .uniform_work_group_size: 1
    .uses_dynamic_stack: false
    .vgpr_count:     40
    .vgpr_spill_count: 0
    .wavefront_size: 32
    .workgroup_processor_mode: 1
  - .args:
      - .offset:         0
        .size:           3144
        .value_kind:     by_value
      - .offset:         3144
        .size:           1
        .value_kind:     by_value
      - .offset:         3145
        .size:           1
        .value_kind:     by_value
      - .address_space:  global
        .offset:         3152
        .size:           8
        .value_kind:     global_buffer
      - .offset:         3160
        .size:           8
        .value_kind:     by_value
      - .offset:         3168
        .size:           4
        .value_kind:     hidden_block_count_x
      - .offset:         3172
        .size:           4
        .value_kind:     hidden_block_count_y
      - .offset:         3176
        .size:           4
        .value_kind:     hidden_block_count_z
      - .offset:         3180
        .size:           2
        .value_kind:     hidden_group_size_x
      - .offset:         3182
        .size:           2
        .value_kind:     hidden_group_size_y
      - .offset:         3184
        .size:           2
        .value_kind:     hidden_group_size_z
      - .offset:         3186
        .size:           2
        .value_kind:     hidden_remainder_x
      - .offset:         3188
        .size:           2
        .value_kind:     hidden_remainder_y
      - .offset:         3190
        .size:           2
        .value_kind:     hidden_remainder_z
      - .offset:         3208
        .size:           8
        .value_kind:     hidden_global_offset_x
      - .offset:         3216
        .size:           8
        .value_kind:     hidden_global_offset_y
      - .offset:         3224
        .size:           8
        .value_kind:     hidden_global_offset_z
      - .offset:         3232
        .size:           2
        .value_kind:     hidden_grid_dims
    .group_segment_fixed_size: 0
    .kernarg_segment_align: 8
    .kernarg_segment_size: 3424
    .language:       OpenCL C
    .language_version:
      - 2
      - 0
    .max_flat_workgroup_size: 512
    .name:           _ZN2at6native12_GLOBAL__N_125multi_tensor_apply_kernelINS1_18TensorListMetadataILi2EEENS1_27BinaryOpScalarTensorFunctorIN3c107complexIfEELi2ELi1ELi1EEEJSt10multipliesIS8_EPS8_S8_EEEvT_T0_DpT1_
    .private_segment_fixed_size: 0
    .sgpr_count:     26
    .sgpr_spill_count: 0
    .symbol:         _ZN2at6native12_GLOBAL__N_125multi_tensor_apply_kernelINS1_18TensorListMetadataILi2EEENS1_27BinaryOpScalarTensorFunctorIN3c107complexIfEELi2ELi1ELi1EEEJSt10multipliesIS8_EPS8_S8_EEEvT_T0_DpT1_.kd
    .uniform_work_group_size: 1
    .uses_dynamic_stack: false
    .vgpr_count:     25
    .vgpr_spill_count: 0
    .wavefront_size: 32
    .workgroup_processor_mode: 1
  - .args:
      - .offset:         0
        .size:           3144
        .value_kind:     by_value
      - .offset:         3144
        .size:           1
        .value_kind:     by_value
      - .offset:         3145
        .size:           1
        .value_kind:     by_value
      - .address_space:  global
        .offset:         3152
        .size:           8
        .value_kind:     global_buffer
      - .offset:         3160
        .size:           1
        .value_kind:     by_value
      - .offset:         3168
        .size:           4
        .value_kind:     hidden_block_count_x
      - .offset:         3172
        .size:           4
        .value_kind:     hidden_block_count_y
      - .offset:         3176
        .size:           4
        .value_kind:     hidden_block_count_z
      - .offset:         3180
        .size:           2
        .value_kind:     hidden_group_size_x
      - .offset:         3182
        .size:           2
        .value_kind:     hidden_group_size_y
      - .offset:         3184
        .size:           2
        .value_kind:     hidden_group_size_z
      - .offset:         3186
        .size:           2
        .value_kind:     hidden_remainder_x
      - .offset:         3188
        .size:           2
        .value_kind:     hidden_remainder_y
      - .offset:         3190
        .size:           2
        .value_kind:     hidden_remainder_z
      - .offset:         3208
        .size:           8
        .value_kind:     hidden_global_offset_x
      - .offset:         3216
        .size:           8
        .value_kind:     hidden_global_offset_y
      - .offset:         3224
        .size:           8
        .value_kind:     hidden_global_offset_z
      - .offset:         3232
        .size:           2
        .value_kind:     hidden_grid_dims
    .group_segment_fixed_size: 0
    .kernarg_segment_align: 8
    .kernarg_segment_size: 3424
    .language:       OpenCL C
    .language_version:
      - 2
      - 0
    .max_flat_workgroup_size: 512
    .name:           _ZN2at6native12_GLOBAL__N_125multi_tensor_apply_kernelINS1_18TensorListMetadataILi2EEENS1_27BinaryOpScalarTensorFunctorIbLi2ELi1ELi1EEEJSt10multipliesIbEPbbEEEvT_T0_DpT1_
    .private_segment_fixed_size: 0
    .sgpr_count:     25
    .sgpr_spill_count: 0
    .symbol:         _ZN2at6native12_GLOBAL__N_125multi_tensor_apply_kernelINS1_18TensorListMetadataILi2EEENS1_27BinaryOpScalarTensorFunctorIbLi2ELi1ELi1EEEJSt10multipliesIbEPbbEEEvT_T0_DpT1_.kd
    .uniform_work_group_size: 1
    .uses_dynamic_stack: false
    .vgpr_count:     30
    .vgpr_spill_count: 0
    .wavefront_size: 32
    .workgroup_processor_mode: 1
  - .args:
      - .offset:         0
        .size:           3144
        .value_kind:     by_value
      - .offset:         3144
        .size:           1
        .value_kind:     by_value
      - .offset:         3145
        .size:           1
        .value_kind:     by_value
      - .address_space:  global
        .offset:         3152
        .size:           8
        .value_kind:     global_buffer
      - .offset:         3160
        .size:           4
        .value_kind:     by_value
      - .offset:         3168
        .size:           4
        .value_kind:     hidden_block_count_x
      - .offset:         3172
        .size:           4
        .value_kind:     hidden_block_count_y
      - .offset:         3176
        .size:           4
        .value_kind:     hidden_block_count_z
      - .offset:         3180
        .size:           2
        .value_kind:     hidden_group_size_x
      - .offset:         3182
        .size:           2
        .value_kind:     hidden_group_size_y
      - .offset:         3184
        .size:           2
        .value_kind:     hidden_group_size_z
      - .offset:         3186
        .size:           2
        .value_kind:     hidden_remainder_x
      - .offset:         3188
        .size:           2
        .value_kind:     hidden_remainder_y
      - .offset:         3190
        .size:           2
        .value_kind:     hidden_remainder_z
      - .offset:         3208
        .size:           8
        .value_kind:     hidden_global_offset_x
      - .offset:         3216
        .size:           8
        .value_kind:     hidden_global_offset_y
      - .offset:         3224
        .size:           8
        .value_kind:     hidden_global_offset_z
      - .offset:         3232
        .size:           2
        .value_kind:     hidden_grid_dims
    .group_segment_fixed_size: 0
    .kernarg_segment_align: 8
    .kernarg_segment_size: 3424
    .language:       OpenCL C
    .language_version:
      - 2
      - 0
    .max_flat_workgroup_size: 512
    .name:           _ZN2at6native12_GLOBAL__N_125multi_tensor_apply_kernelINS1_18TensorListMetadataILi2EEENS1_27BinaryOpScalarTensorFunctorIN3c104HalfELi2ELi1ELi1EEEJSt10multipliesIfEPS7_fEEEvT_T0_DpT1_
    .private_segment_fixed_size: 0
    .sgpr_count:     26
    .sgpr_spill_count: 0
    .symbol:         _ZN2at6native12_GLOBAL__N_125multi_tensor_apply_kernelINS1_18TensorListMetadataILi2EEENS1_27BinaryOpScalarTensorFunctorIN3c104HalfELi2ELi1ELi1EEEJSt10multipliesIfEPS7_fEEEvT_T0_DpT1_.kd
    .uniform_work_group_size: 1
    .uses_dynamic_stack: false
    .vgpr_count:     31
    .vgpr_spill_count: 0
    .wavefront_size: 32
    .workgroup_processor_mode: 1
  - .args:
      - .offset:         0
        .size:           3144
        .value_kind:     by_value
      - .offset:         3144
        .size:           1
        .value_kind:     by_value
      - .offset:         3145
        .size:           1
        .value_kind:     by_value
      - .address_space:  global
        .offset:         3152
        .size:           8
        .value_kind:     global_buffer
      - .offset:         3160
        .size:           4
        .value_kind:     by_value
      - .offset:         3168
        .size:           4
        .value_kind:     hidden_block_count_x
      - .offset:         3172
        .size:           4
        .value_kind:     hidden_block_count_y
      - .offset:         3176
        .size:           4
        .value_kind:     hidden_block_count_z
      - .offset:         3180
        .size:           2
        .value_kind:     hidden_group_size_x
      - .offset:         3182
        .size:           2
        .value_kind:     hidden_group_size_y
      - .offset:         3184
        .size:           2
        .value_kind:     hidden_group_size_z
      - .offset:         3186
        .size:           2
        .value_kind:     hidden_remainder_x
      - .offset:         3188
        .size:           2
        .value_kind:     hidden_remainder_y
      - .offset:         3190
        .size:           2
        .value_kind:     hidden_remainder_z
      - .offset:         3208
        .size:           8
        .value_kind:     hidden_global_offset_x
      - .offset:         3216
        .size:           8
        .value_kind:     hidden_global_offset_y
      - .offset:         3224
        .size:           8
        .value_kind:     hidden_global_offset_z
      - .offset:         3232
        .size:           2
        .value_kind:     hidden_grid_dims
    .group_segment_fixed_size: 0
    .kernarg_segment_align: 8
    .kernarg_segment_size: 3424
    .language:       OpenCL C
    .language_version:
      - 2
      - 0
    .max_flat_workgroup_size: 512
    .name:           _ZN2at6native12_GLOBAL__N_125multi_tensor_apply_kernelINS1_18TensorListMetadataILi2EEENS1_27BinaryOpScalarTensorFunctorIN3c108BFloat16ELi2ELi1ELi1EEEJSt10multipliesIfEPS7_fEEEvT_T0_DpT1_
    .private_segment_fixed_size: 0
    .sgpr_count:     26
    .sgpr_spill_count: 0
    .symbol:         _ZN2at6native12_GLOBAL__N_125multi_tensor_apply_kernelINS1_18TensorListMetadataILi2EEENS1_27BinaryOpScalarTensorFunctorIN3c108BFloat16ELi2ELi1ELi1EEEJSt10multipliesIfEPS7_fEEEvT_T0_DpT1_.kd
    .uniform_work_group_size: 1
    .uses_dynamic_stack: false
    .vgpr_count:     31
    .vgpr_spill_count: 0
    .wavefront_size: 32
    .workgroup_processor_mode: 1
  - .args:
      - .offset:         0
        .size:           3368
        .value_kind:     by_value
      - .offset:         3368
        .size:           1
        .value_kind:     by_value
      - .offset:         3369
        .size:           1
        .value_kind:     by_value
      - .address_space:  global
        .offset:         3376
        .size:           8
        .value_kind:     global_buffer
      - .offset:         3384
        .size:           1
        .value_kind:     by_value
      - .offset:         3392
        .size:           4
        .value_kind:     hidden_block_count_x
      - .offset:         3396
        .size:           4
        .value_kind:     hidden_block_count_y
      - .offset:         3400
        .size:           4
        .value_kind:     hidden_block_count_z
      - .offset:         3404
        .size:           2
        .value_kind:     hidden_group_size_x
      - .offset:         3406
        .size:           2
        .value_kind:     hidden_group_size_y
      - .offset:         3408
        .size:           2
        .value_kind:     hidden_group_size_z
      - .offset:         3410
        .size:           2
        .value_kind:     hidden_remainder_x
      - .offset:         3412
        .size:           2
        .value_kind:     hidden_remainder_y
      - .offset:         3414
        .size:           2
        .value_kind:     hidden_remainder_z
      - .offset:         3432
        .size:           8
        .value_kind:     hidden_global_offset_x
      - .offset:         3440
        .size:           8
        .value_kind:     hidden_global_offset_y
      - .offset:         3448
        .size:           8
        .value_kind:     hidden_global_offset_z
      - .offset:         3456
        .size:           2
        .value_kind:     hidden_grid_dims
    .group_segment_fixed_size: 0
    .kernarg_segment_align: 8
    .kernarg_segment_size: 3648
    .language:       OpenCL C
    .language_version:
      - 2
      - 0
    .max_flat_workgroup_size: 512
    .name:           _ZN2at6native12_GLOBAL__N_125multi_tensor_apply_kernelINS1_18TensorListMetadataILi1EEENS1_27BinaryOpScalarTensorFunctorIhLi1ELi1ELi0EEEJSt7dividesIhEPhhEEEvT_T0_DpT1_
    .private_segment_fixed_size: 0
    .sgpr_count:     26
    .sgpr_spill_count: 0
    .symbol:         _ZN2at6native12_GLOBAL__N_125multi_tensor_apply_kernelINS1_18TensorListMetadataILi1EEENS1_27BinaryOpScalarTensorFunctorIhLi1ELi1ELi0EEEJSt7dividesIhEPhhEEEvT_T0_DpT1_.kd
    .uniform_work_group_size: 1
    .uses_dynamic_stack: false
    .vgpr_count:     24
    .vgpr_spill_count: 0
    .wavefront_size: 32
    .workgroup_processor_mode: 1
  - .args:
      - .offset:         0
        .size:           3368
        .value_kind:     by_value
      - .offset:         3368
        .size:           1
        .value_kind:     by_value
      - .offset:         3369
        .size:           1
        .value_kind:     by_value
      - .address_space:  global
        .offset:         3376
        .size:           8
        .value_kind:     global_buffer
      - .offset:         3384
        .size:           1
        .value_kind:     by_value
      - .offset:         3392
        .size:           4
        .value_kind:     hidden_block_count_x
      - .offset:         3396
        .size:           4
        .value_kind:     hidden_block_count_y
      - .offset:         3400
        .size:           4
        .value_kind:     hidden_block_count_z
      - .offset:         3404
        .size:           2
        .value_kind:     hidden_group_size_x
      - .offset:         3406
        .size:           2
        .value_kind:     hidden_group_size_y
      - .offset:         3408
        .size:           2
        .value_kind:     hidden_group_size_z
      - .offset:         3410
        .size:           2
        .value_kind:     hidden_remainder_x
      - .offset:         3412
        .size:           2
        .value_kind:     hidden_remainder_y
      - .offset:         3414
        .size:           2
        .value_kind:     hidden_remainder_z
      - .offset:         3432
        .size:           8
        .value_kind:     hidden_global_offset_x
      - .offset:         3440
        .size:           8
        .value_kind:     hidden_global_offset_y
      - .offset:         3448
        .size:           8
        .value_kind:     hidden_global_offset_z
      - .offset:         3456
        .size:           2
        .value_kind:     hidden_grid_dims
    .group_segment_fixed_size: 0
    .kernarg_segment_align: 8
    .kernarg_segment_size: 3648
    .language:       OpenCL C
    .language_version:
      - 2
      - 0
    .max_flat_workgroup_size: 512
    .name:           _ZN2at6native12_GLOBAL__N_125multi_tensor_apply_kernelINS1_18TensorListMetadataILi1EEENS1_27BinaryOpScalarTensorFunctorIaLi1ELi1ELi0EEEJSt7dividesIaEPaaEEEvT_T0_DpT1_
    .private_segment_fixed_size: 0
    .sgpr_count:     27
    .sgpr_spill_count: 0
    .symbol:         _ZN2at6native12_GLOBAL__N_125multi_tensor_apply_kernelINS1_18TensorListMetadataILi1EEENS1_27BinaryOpScalarTensorFunctorIaLi1ELi1ELi0EEEJSt7dividesIaEPaaEEEvT_T0_DpT1_.kd
    .uniform_work_group_size: 1
    .uses_dynamic_stack: false
    .vgpr_count:     23
    .vgpr_spill_count: 0
    .wavefront_size: 32
    .workgroup_processor_mode: 1
  - .args:
      - .offset:         0
        .size:           3368
        .value_kind:     by_value
      - .offset:         3368
        .size:           1
        .value_kind:     by_value
      - .offset:         3369
        .size:           1
        .value_kind:     by_value
      - .address_space:  global
        .offset:         3376
        .size:           8
        .value_kind:     global_buffer
      - .offset:         3384
        .size:           4
        .value_kind:     by_value
      - .offset:         3392
        .size:           4
        .value_kind:     hidden_block_count_x
      - .offset:         3396
        .size:           4
        .value_kind:     hidden_block_count_y
      - .offset:         3400
        .size:           4
        .value_kind:     hidden_block_count_z
      - .offset:         3404
        .size:           2
        .value_kind:     hidden_group_size_x
      - .offset:         3406
        .size:           2
        .value_kind:     hidden_group_size_y
      - .offset:         3408
        .size:           2
        .value_kind:     hidden_group_size_z
      - .offset:         3410
        .size:           2
        .value_kind:     hidden_remainder_x
      - .offset:         3412
        .size:           2
        .value_kind:     hidden_remainder_y
      - .offset:         3414
        .size:           2
        .value_kind:     hidden_remainder_z
      - .offset:         3432
        .size:           8
        .value_kind:     hidden_global_offset_x
      - .offset:         3440
        .size:           8
        .value_kind:     hidden_global_offset_y
      - .offset:         3448
        .size:           8
        .value_kind:     hidden_global_offset_z
      - .offset:         3456
        .size:           2
        .value_kind:     hidden_grid_dims
    .group_segment_fixed_size: 0
    .kernarg_segment_align: 8
    .kernarg_segment_size: 3648
    .language:       OpenCL C
    .language_version:
      - 2
      - 0
    .max_flat_workgroup_size: 512
    .name:           _ZN2at6native12_GLOBAL__N_125multi_tensor_apply_kernelINS1_18TensorListMetadataILi1EEENS1_27BinaryOpScalarTensorFunctorIiLi1ELi1ELi0EEEJSt7dividesIiEPiiEEEvT_T0_DpT1_
    .private_segment_fixed_size: 0
    .sgpr_count:     32
    .sgpr_spill_count: 0
    .symbol:         _ZN2at6native12_GLOBAL__N_125multi_tensor_apply_kernelINS1_18TensorListMetadataILi1EEENS1_27BinaryOpScalarTensorFunctorIiLi1ELi1ELi0EEEJSt7dividesIiEPiiEEEvT_T0_DpT1_.kd
    .uniform_work_group_size: 1
    .uses_dynamic_stack: false
    .vgpr_count:     25
    .vgpr_spill_count: 0
    .wavefront_size: 32
    .workgroup_processor_mode: 1
  - .args:
      - .offset:         0
        .size:           3368
        .value_kind:     by_value
      - .offset:         3368
        .size:           1
        .value_kind:     by_value
      - .offset:         3369
        .size:           1
        .value_kind:     by_value
      - .address_space:  global
        .offset:         3376
        .size:           8
        .value_kind:     global_buffer
      - .offset:         3384
        .size:           8
        .value_kind:     by_value
      - .offset:         3392
        .size:           4
        .value_kind:     hidden_block_count_x
      - .offset:         3396
        .size:           4
        .value_kind:     hidden_block_count_y
      - .offset:         3400
        .size:           4
        .value_kind:     hidden_block_count_z
      - .offset:         3404
        .size:           2
        .value_kind:     hidden_group_size_x
      - .offset:         3406
        .size:           2
        .value_kind:     hidden_group_size_y
      - .offset:         3408
        .size:           2
        .value_kind:     hidden_group_size_z
      - .offset:         3410
        .size:           2
        .value_kind:     hidden_remainder_x
      - .offset:         3412
        .size:           2
        .value_kind:     hidden_remainder_y
      - .offset:         3414
        .size:           2
        .value_kind:     hidden_remainder_z
      - .offset:         3432
        .size:           8
        .value_kind:     hidden_global_offset_x
      - .offset:         3440
        .size:           8
        .value_kind:     hidden_global_offset_y
      - .offset:         3448
        .size:           8
        .value_kind:     hidden_global_offset_z
      - .offset:         3456
        .size:           2
        .value_kind:     hidden_grid_dims
    .group_segment_fixed_size: 0
    .kernarg_segment_align: 8
    .kernarg_segment_size: 3648
    .language:       OpenCL C
    .language_version:
      - 2
      - 0
    .max_flat_workgroup_size: 512
    .name:           _ZN2at6native12_GLOBAL__N_125multi_tensor_apply_kernelINS1_18TensorListMetadataILi1EEENS1_27BinaryOpScalarTensorFunctorIlLi1ELi1ELi0EEEJSt7dividesIlEPllEEEvT_T0_DpT1_
    .private_segment_fixed_size: 0
    .sgpr_count:     50
    .sgpr_spill_count: 0
    .symbol:         _ZN2at6native12_GLOBAL__N_125multi_tensor_apply_kernelINS1_18TensorListMetadataILi1EEENS1_27BinaryOpScalarTensorFunctorIlLi1ELi1ELi0EEEJSt7dividesIlEPllEEEvT_T0_DpT1_.kd
    .uniform_work_group_size: 1
    .uses_dynamic_stack: false
    .vgpr_count:     29
    .vgpr_spill_count: 0
    .wavefront_size: 32
    .workgroup_processor_mode: 1
  - .args:
      - .offset:         0
        .size:           3368
        .value_kind:     by_value
      - .offset:         3368
        .size:           1
        .value_kind:     by_value
      - .offset:         3369
        .size:           1
        .value_kind:     by_value
      - .address_space:  global
        .offset:         3376
        .size:           8
        .value_kind:     global_buffer
      - .offset:         3384
        .size:           2
        .value_kind:     by_value
      - .offset:         3392
        .size:           4
        .value_kind:     hidden_block_count_x
      - .offset:         3396
        .size:           4
        .value_kind:     hidden_block_count_y
      - .offset:         3400
        .size:           4
        .value_kind:     hidden_block_count_z
      - .offset:         3404
        .size:           2
        .value_kind:     hidden_group_size_x
      - .offset:         3406
        .size:           2
        .value_kind:     hidden_group_size_y
      - .offset:         3408
        .size:           2
        .value_kind:     hidden_group_size_z
      - .offset:         3410
        .size:           2
        .value_kind:     hidden_remainder_x
      - .offset:         3412
        .size:           2
        .value_kind:     hidden_remainder_y
      - .offset:         3414
        .size:           2
        .value_kind:     hidden_remainder_z
      - .offset:         3432
        .size:           8
        .value_kind:     hidden_global_offset_x
      - .offset:         3440
        .size:           8
        .value_kind:     hidden_global_offset_y
      - .offset:         3448
        .size:           8
        .value_kind:     hidden_global_offset_z
      - .offset:         3456
        .size:           2
        .value_kind:     hidden_grid_dims
    .group_segment_fixed_size: 0
    .kernarg_segment_align: 8
    .kernarg_segment_size: 3648
    .language:       OpenCL C
    .language_version:
      - 2
      - 0
    .max_flat_workgroup_size: 512
    .name:           _ZN2at6native12_GLOBAL__N_125multi_tensor_apply_kernelINS1_18TensorListMetadataILi1EEENS1_27BinaryOpScalarTensorFunctorIsLi1ELi1ELi0EEEJSt7dividesIsEPssEEEvT_T0_DpT1_
    .private_segment_fixed_size: 0
    .sgpr_count:     32
    .sgpr_spill_count: 0
    .symbol:         _ZN2at6native12_GLOBAL__N_125multi_tensor_apply_kernelINS1_18TensorListMetadataILi1EEENS1_27BinaryOpScalarTensorFunctorIsLi1ELi1ELi0EEEJSt7dividesIsEPssEEEvT_T0_DpT1_.kd
    .uniform_work_group_size: 1
    .uses_dynamic_stack: false
    .vgpr_count:     25
    .vgpr_spill_count: 0
    .wavefront_size: 32
    .workgroup_processor_mode: 1
  - .args:
      - .offset:         0
        .size:           3368
        .value_kind:     by_value
      - .offset:         3368
        .size:           1
        .value_kind:     by_value
      - .offset:         3369
        .size:           1
        .value_kind:     by_value
      - .address_space:  global
        .offset:         3376
        .size:           8
        .value_kind:     global_buffer
      - .offset:         3384
        .size:           8
        .value_kind:     by_value
      - .offset:         3392
        .size:           4
        .value_kind:     hidden_block_count_x
      - .offset:         3396
        .size:           4
        .value_kind:     hidden_block_count_y
      - .offset:         3400
        .size:           4
        .value_kind:     hidden_block_count_z
      - .offset:         3404
        .size:           2
        .value_kind:     hidden_group_size_x
      - .offset:         3406
        .size:           2
        .value_kind:     hidden_group_size_y
      - .offset:         3408
        .size:           2
        .value_kind:     hidden_group_size_z
      - .offset:         3410
        .size:           2
        .value_kind:     hidden_remainder_x
      - .offset:         3412
        .size:           2
        .value_kind:     hidden_remainder_y
      - .offset:         3414
        .size:           2
        .value_kind:     hidden_remainder_z
      - .offset:         3432
        .size:           8
        .value_kind:     hidden_global_offset_x
      - .offset:         3440
        .size:           8
        .value_kind:     hidden_global_offset_y
      - .offset:         3448
        .size:           8
        .value_kind:     hidden_global_offset_z
      - .offset:         3456
        .size:           2
        .value_kind:     hidden_grid_dims
    .group_segment_fixed_size: 0
    .kernarg_segment_align: 8
    .kernarg_segment_size: 3648
    .language:       OpenCL C
    .language_version:
      - 2
      - 0
    .max_flat_workgroup_size: 512
    .name:           _ZN2at6native12_GLOBAL__N_125multi_tensor_apply_kernelINS1_18TensorListMetadataILi1EEENS1_27BinaryOpScalarTensorFunctorIdLi1ELi1ELi0EEEJSt7dividesIdEPddEEEvT_T0_DpT1_
    .private_segment_fixed_size: 0
    .sgpr_count:     31
    .sgpr_spill_count: 0
    .symbol:         _ZN2at6native12_GLOBAL__N_125multi_tensor_apply_kernelINS1_18TensorListMetadataILi1EEENS1_27BinaryOpScalarTensorFunctorIdLi1ELi1ELi0EEEJSt7dividesIdEPddEEEvT_T0_DpT1_.kd
    .uniform_work_group_size: 1
    .uses_dynamic_stack: false
    .vgpr_count:     47
    .vgpr_spill_count: 0
    .wavefront_size: 32
    .workgroup_processor_mode: 1
  - .args:
      - .offset:         0
        .size:           3368
        .value_kind:     by_value
      - .offset:         3368
        .size:           1
        .value_kind:     by_value
      - .offset:         3369
        .size:           1
        .value_kind:     by_value
      - .address_space:  global
        .offset:         3376
        .size:           8
        .value_kind:     global_buffer
      - .offset:         3384
        .size:           4
        .value_kind:     by_value
      - .offset:         3392
        .size:           4
        .value_kind:     hidden_block_count_x
      - .offset:         3396
        .size:           4
        .value_kind:     hidden_block_count_y
      - .offset:         3400
        .size:           4
        .value_kind:     hidden_block_count_z
      - .offset:         3404
        .size:           2
        .value_kind:     hidden_group_size_x
      - .offset:         3406
        .size:           2
        .value_kind:     hidden_group_size_y
      - .offset:         3408
        .size:           2
        .value_kind:     hidden_group_size_z
      - .offset:         3410
        .size:           2
        .value_kind:     hidden_remainder_x
      - .offset:         3412
        .size:           2
        .value_kind:     hidden_remainder_y
      - .offset:         3414
        .size:           2
        .value_kind:     hidden_remainder_z
      - .offset:         3432
        .size:           8
        .value_kind:     hidden_global_offset_x
      - .offset:         3440
        .size:           8
        .value_kind:     hidden_global_offset_y
      - .offset:         3448
        .size:           8
        .value_kind:     hidden_global_offset_z
      - .offset:         3456
        .size:           2
        .value_kind:     hidden_grid_dims
    .group_segment_fixed_size: 0
    .kernarg_segment_align: 8
    .kernarg_segment_size: 3648
    .language:       OpenCL C
    .language_version:
      - 2
      - 0
    .max_flat_workgroup_size: 512
    .name:           _ZN2at6native12_GLOBAL__N_125multi_tensor_apply_kernelINS1_18TensorListMetadataILi1EEENS1_27BinaryOpScalarTensorFunctorIfLi1ELi1ELi0EEEJSt7dividesIfEPffEEEvT_T0_DpT1_
    .private_segment_fixed_size: 0
    .sgpr_count:     30
    .sgpr_spill_count: 0
    .symbol:         _ZN2at6native12_GLOBAL__N_125multi_tensor_apply_kernelINS1_18TensorListMetadataILi1EEENS1_27BinaryOpScalarTensorFunctorIfLi1ELi1ELi0EEEJSt7dividesIfEPffEEEvT_T0_DpT1_.kd
    .uniform_work_group_size: 1
    .uses_dynamic_stack: false
    .vgpr_count:     30
    .vgpr_spill_count: 0
    .wavefront_size: 32
    .workgroup_processor_mode: 1
  - .args:
      - .offset:         0
        .size:           3368
        .value_kind:     by_value
      - .offset:         3368
        .size:           1
        .value_kind:     by_value
      - .offset:         3369
        .size:           1
        .value_kind:     by_value
      - .address_space:  global
        .offset:         3376
        .size:           8
        .value_kind:     global_buffer
      - .offset:         3392
        .size:           16
        .value_kind:     by_value
      - .offset:         3408
        .size:           4
        .value_kind:     hidden_block_count_x
      - .offset:         3412
        .size:           4
        .value_kind:     hidden_block_count_y
      - .offset:         3416
        .size:           4
        .value_kind:     hidden_block_count_z
      - .offset:         3420
        .size:           2
        .value_kind:     hidden_group_size_x
      - .offset:         3422
        .size:           2
        .value_kind:     hidden_group_size_y
      - .offset:         3424
        .size:           2
        .value_kind:     hidden_group_size_z
      - .offset:         3426
        .size:           2
        .value_kind:     hidden_remainder_x
      - .offset:         3428
        .size:           2
        .value_kind:     hidden_remainder_y
      - .offset:         3430
        .size:           2
        .value_kind:     hidden_remainder_z
      - .offset:         3448
        .size:           8
        .value_kind:     hidden_global_offset_x
      - .offset:         3456
        .size:           8
        .value_kind:     hidden_global_offset_y
      - .offset:         3464
        .size:           8
        .value_kind:     hidden_global_offset_z
      - .offset:         3472
        .size:           2
        .value_kind:     hidden_grid_dims
    .group_segment_fixed_size: 0
    .kernarg_segment_align: 16
    .kernarg_segment_size: 3664
    .language:       OpenCL C
    .language_version:
      - 2
      - 0
    .max_flat_workgroup_size: 512
    .name:           _ZN2at6native12_GLOBAL__N_125multi_tensor_apply_kernelINS1_18TensorListMetadataILi1EEENS1_27BinaryOpScalarTensorFunctorIN3c107complexIdEELi1ELi1ELi0EEEJSt7dividesIS8_EPS8_S8_EEEvT_T0_DpT1_
    .private_segment_fixed_size: 0
    .sgpr_count:     38
    .sgpr_spill_count: 0
    .symbol:         _ZN2at6native12_GLOBAL__N_125multi_tensor_apply_kernelINS1_18TensorListMetadataILi1EEENS1_27BinaryOpScalarTensorFunctorIN3c107complexIdEELi1ELi1ELi0EEEJSt7dividesIS8_EPS8_S8_EEEvT_T0_DpT1_.kd
    .uniform_work_group_size: 1
    .uses_dynamic_stack: false
    .vgpr_count:     60
    .vgpr_spill_count: 0
    .wavefront_size: 32
    .workgroup_processor_mode: 1
  - .args:
      - .offset:         0
        .size:           3368
        .value_kind:     by_value
      - .offset:         3368
        .size:           1
        .value_kind:     by_value
      - .offset:         3369
        .size:           1
        .value_kind:     by_value
      - .address_space:  global
        .offset:         3376
        .size:           8
        .value_kind:     global_buffer
      - .offset:         3384
        .size:           8
        .value_kind:     by_value
      - .offset:         3392
        .size:           4
        .value_kind:     hidden_block_count_x
      - .offset:         3396
        .size:           4
        .value_kind:     hidden_block_count_y
      - .offset:         3400
        .size:           4
        .value_kind:     hidden_block_count_z
      - .offset:         3404
        .size:           2
        .value_kind:     hidden_group_size_x
      - .offset:         3406
        .size:           2
        .value_kind:     hidden_group_size_y
      - .offset:         3408
        .size:           2
        .value_kind:     hidden_group_size_z
      - .offset:         3410
        .size:           2
        .value_kind:     hidden_remainder_x
      - .offset:         3412
        .size:           2
        .value_kind:     hidden_remainder_y
      - .offset:         3414
        .size:           2
        .value_kind:     hidden_remainder_z
      - .offset:         3432
        .size:           8
        .value_kind:     hidden_global_offset_x
      - .offset:         3440
        .size:           8
        .value_kind:     hidden_global_offset_y
      - .offset:         3448
        .size:           8
        .value_kind:     hidden_global_offset_z
      - .offset:         3456
        .size:           2
        .value_kind:     hidden_grid_dims
    .group_segment_fixed_size: 0
    .kernarg_segment_align: 8
    .kernarg_segment_size: 3648
    .language:       OpenCL C
    .language_version:
      - 2
      - 0
    .max_flat_workgroup_size: 512
    .name:           _ZN2at6native12_GLOBAL__N_125multi_tensor_apply_kernelINS1_18TensorListMetadataILi1EEENS1_27BinaryOpScalarTensorFunctorIN3c107complexIfEELi1ELi1ELi0EEEJSt7dividesIS8_EPS8_S8_EEEvT_T0_DpT1_
    .private_segment_fixed_size: 0
    .sgpr_count:     37
    .sgpr_spill_count: 0
    .symbol:         _ZN2at6native12_GLOBAL__N_125multi_tensor_apply_kernelINS1_18TensorListMetadataILi1EEENS1_27BinaryOpScalarTensorFunctorIN3c107complexIfEELi1ELi1ELi0EEEJSt7dividesIS8_EPS8_S8_EEEvT_T0_DpT1_.kd
    .uniform_work_group_size: 1
    .uses_dynamic_stack: false
    .vgpr_count:     38
    .vgpr_spill_count: 0
    .wavefront_size: 32
    .workgroup_processor_mode: 1
  - .args:
      - .offset:         0
        .size:           3368
        .value_kind:     by_value
      - .offset:         3368
        .size:           1
        .value_kind:     by_value
      - .offset:         3369
        .size:           1
        .value_kind:     by_value
      - .address_space:  global
        .offset:         3376
        .size:           8
        .value_kind:     global_buffer
      - .offset:         3384
        .size:           1
        .value_kind:     by_value
      - .offset:         3392
        .size:           4
        .value_kind:     hidden_block_count_x
      - .offset:         3396
        .size:           4
        .value_kind:     hidden_block_count_y
      - .offset:         3400
        .size:           4
        .value_kind:     hidden_block_count_z
      - .offset:         3404
        .size:           2
        .value_kind:     hidden_group_size_x
      - .offset:         3406
        .size:           2
        .value_kind:     hidden_group_size_y
      - .offset:         3408
        .size:           2
        .value_kind:     hidden_group_size_z
      - .offset:         3410
        .size:           2
        .value_kind:     hidden_remainder_x
      - .offset:         3412
        .size:           2
        .value_kind:     hidden_remainder_y
      - .offset:         3414
        .size:           2
        .value_kind:     hidden_remainder_z
      - .offset:         3432
        .size:           8
        .value_kind:     hidden_global_offset_x
      - .offset:         3440
        .size:           8
        .value_kind:     hidden_global_offset_y
      - .offset:         3448
        .size:           8
        .value_kind:     hidden_global_offset_z
      - .offset:         3456
        .size:           2
        .value_kind:     hidden_grid_dims
    .group_segment_fixed_size: 0
    .kernarg_segment_align: 8
    .kernarg_segment_size: 3648
    .language:       OpenCL C
    .language_version:
      - 2
      - 0
    .max_flat_workgroup_size: 512
    .name:           _ZN2at6native12_GLOBAL__N_125multi_tensor_apply_kernelINS1_18TensorListMetadataILi1EEENS1_27BinaryOpScalarTensorFunctorIbLi1ELi1ELi0EEEJSt7dividesIbEPbbEEEvT_T0_DpT1_
    .private_segment_fixed_size: 0
    .sgpr_count:     23
    .sgpr_spill_count: 0
    .symbol:         _ZN2at6native12_GLOBAL__N_125multi_tensor_apply_kernelINS1_18TensorListMetadataILi1EEENS1_27BinaryOpScalarTensorFunctorIbLi1ELi1ELi0EEEJSt7dividesIbEPbbEEEvT_T0_DpT1_.kd
    .uniform_work_group_size: 1
    .uses_dynamic_stack: false
    .vgpr_count:     20
    .vgpr_spill_count: 0
    .wavefront_size: 32
    .workgroup_processor_mode: 1
  - .args:
      - .offset:         0
        .size:           3368
        .value_kind:     by_value
      - .offset:         3368
        .size:           1
        .value_kind:     by_value
      - .offset:         3369
        .size:           1
        .value_kind:     by_value
      - .address_space:  global
        .offset:         3376
        .size:           8
        .value_kind:     global_buffer
      - .offset:         3384
        .size:           4
        .value_kind:     by_value
      - .offset:         3392
        .size:           4
        .value_kind:     hidden_block_count_x
      - .offset:         3396
        .size:           4
        .value_kind:     hidden_block_count_y
      - .offset:         3400
        .size:           4
        .value_kind:     hidden_block_count_z
      - .offset:         3404
        .size:           2
        .value_kind:     hidden_group_size_x
      - .offset:         3406
        .size:           2
        .value_kind:     hidden_group_size_y
      - .offset:         3408
        .size:           2
        .value_kind:     hidden_group_size_z
      - .offset:         3410
        .size:           2
        .value_kind:     hidden_remainder_x
      - .offset:         3412
        .size:           2
        .value_kind:     hidden_remainder_y
      - .offset:         3414
        .size:           2
        .value_kind:     hidden_remainder_z
      - .offset:         3432
        .size:           8
        .value_kind:     hidden_global_offset_x
      - .offset:         3440
        .size:           8
        .value_kind:     hidden_global_offset_y
      - .offset:         3448
        .size:           8
        .value_kind:     hidden_global_offset_z
      - .offset:         3456
        .size:           2
        .value_kind:     hidden_grid_dims
    .group_segment_fixed_size: 0
    .kernarg_segment_align: 8
    .kernarg_segment_size: 3648
    .language:       OpenCL C
    .language_version:
      - 2
      - 0
    .max_flat_workgroup_size: 512
    .name:           _ZN2at6native12_GLOBAL__N_125multi_tensor_apply_kernelINS1_18TensorListMetadataILi1EEENS1_27BinaryOpScalarTensorFunctorIN3c104HalfELi1ELi1ELi0EEEJSt7dividesIfEPS7_fEEEvT_T0_DpT1_
    .private_segment_fixed_size: 0
    .sgpr_count:     29
    .sgpr_spill_count: 0
    .symbol:         _ZN2at6native12_GLOBAL__N_125multi_tensor_apply_kernelINS1_18TensorListMetadataILi1EEENS1_27BinaryOpScalarTensorFunctorIN3c104HalfELi1ELi1ELi0EEEJSt7dividesIfEPS7_fEEEvT_T0_DpT1_.kd
    .uniform_work_group_size: 1
    .uses_dynamic_stack: false
    .vgpr_count:     30
    .vgpr_spill_count: 0
    .wavefront_size: 32
    .workgroup_processor_mode: 1
  - .args:
      - .offset:         0
        .size:           3368
        .value_kind:     by_value
      - .offset:         3368
        .size:           1
        .value_kind:     by_value
      - .offset:         3369
        .size:           1
        .value_kind:     by_value
      - .address_space:  global
        .offset:         3376
        .size:           8
        .value_kind:     global_buffer
      - .offset:         3384
        .size:           4
        .value_kind:     by_value
      - .offset:         3392
        .size:           4
        .value_kind:     hidden_block_count_x
      - .offset:         3396
        .size:           4
        .value_kind:     hidden_block_count_y
      - .offset:         3400
        .size:           4
        .value_kind:     hidden_block_count_z
      - .offset:         3404
        .size:           2
        .value_kind:     hidden_group_size_x
      - .offset:         3406
        .size:           2
        .value_kind:     hidden_group_size_y
      - .offset:         3408
        .size:           2
        .value_kind:     hidden_group_size_z
      - .offset:         3410
        .size:           2
        .value_kind:     hidden_remainder_x
      - .offset:         3412
        .size:           2
        .value_kind:     hidden_remainder_y
      - .offset:         3414
        .size:           2
        .value_kind:     hidden_remainder_z
      - .offset:         3432
        .size:           8
        .value_kind:     hidden_global_offset_x
      - .offset:         3440
        .size:           8
        .value_kind:     hidden_global_offset_y
      - .offset:         3448
        .size:           8
        .value_kind:     hidden_global_offset_z
      - .offset:         3456
        .size:           2
        .value_kind:     hidden_grid_dims
    .group_segment_fixed_size: 0
    .kernarg_segment_align: 8
    .kernarg_segment_size: 3648
    .language:       OpenCL C
    .language_version:
      - 2
      - 0
    .max_flat_workgroup_size: 512
    .name:           _ZN2at6native12_GLOBAL__N_125multi_tensor_apply_kernelINS1_18TensorListMetadataILi1EEENS1_27BinaryOpScalarTensorFunctorIN3c108BFloat16ELi1ELi1ELi0EEEJSt7dividesIfEPS7_fEEEvT_T0_DpT1_
    .private_segment_fixed_size: 0
    .sgpr_count:     29
    .sgpr_spill_count: 0
    .symbol:         _ZN2at6native12_GLOBAL__N_125multi_tensor_apply_kernelINS1_18TensorListMetadataILi1EEENS1_27BinaryOpScalarTensorFunctorIN3c108BFloat16ELi1ELi1ELi0EEEJSt7dividesIfEPS7_fEEEvT_T0_DpT1_.kd
    .uniform_work_group_size: 1
    .uses_dynamic_stack: false
    .vgpr_count:     30
    .vgpr_spill_count: 0
    .wavefront_size: 32
    .workgroup_processor_mode: 1
  - .args:
      - .offset:         0
        .size:           3144
        .value_kind:     by_value
      - .offset:         3144
        .size:           1
        .value_kind:     by_value
      - .offset:         3145
        .size:           1
        .value_kind:     by_value
      - .address_space:  global
        .offset:         3152
        .size:           8
        .value_kind:     global_buffer
      - .offset:         3160
        .size:           1
        .value_kind:     by_value
      - .offset:         3168
        .size:           4
        .value_kind:     hidden_block_count_x
      - .offset:         3172
        .size:           4
        .value_kind:     hidden_block_count_y
      - .offset:         3176
        .size:           4
        .value_kind:     hidden_block_count_z
      - .offset:         3180
        .size:           2
        .value_kind:     hidden_group_size_x
      - .offset:         3182
        .size:           2
        .value_kind:     hidden_group_size_y
      - .offset:         3184
        .size:           2
        .value_kind:     hidden_group_size_z
      - .offset:         3186
        .size:           2
        .value_kind:     hidden_remainder_x
      - .offset:         3188
        .size:           2
        .value_kind:     hidden_remainder_y
      - .offset:         3190
        .size:           2
        .value_kind:     hidden_remainder_z
      - .offset:         3208
        .size:           8
        .value_kind:     hidden_global_offset_x
      - .offset:         3216
        .size:           8
        .value_kind:     hidden_global_offset_y
      - .offset:         3224
        .size:           8
        .value_kind:     hidden_global_offset_z
      - .offset:         3232
        .size:           2
        .value_kind:     hidden_grid_dims
    .group_segment_fixed_size: 0
    .kernarg_segment_align: 8
    .kernarg_segment_size: 3424
    .language:       OpenCL C
    .language_version:
      - 2
      - 0
    .max_flat_workgroup_size: 512
    .name:           _ZN2at6native12_GLOBAL__N_125multi_tensor_apply_kernelINS1_18TensorListMetadataILi2EEENS1_27BinaryOpScalarTensorFunctorIhLi2ELi1ELi1EEEJSt7dividesIhEPhhEEEvT_T0_DpT1_
    .private_segment_fixed_size: 0
    .sgpr_count:     23
    .sgpr_spill_count: 0
    .symbol:         _ZN2at6native12_GLOBAL__N_125multi_tensor_apply_kernelINS1_18TensorListMetadataILi2EEENS1_27BinaryOpScalarTensorFunctorIhLi2ELi1ELi1EEEJSt7dividesIhEPhhEEEvT_T0_DpT1_.kd
    .uniform_work_group_size: 1
    .uses_dynamic_stack: false
    .vgpr_count:     32
    .vgpr_spill_count: 0
    .wavefront_size: 32
    .workgroup_processor_mode: 1
  - .args:
      - .offset:         0
        .size:           3144
        .value_kind:     by_value
      - .offset:         3144
        .size:           1
        .value_kind:     by_value
      - .offset:         3145
        .size:           1
        .value_kind:     by_value
      - .address_space:  global
        .offset:         3152
        .size:           8
        .value_kind:     global_buffer
      - .offset:         3160
        .size:           1
        .value_kind:     by_value
      - .offset:         3168
        .size:           4
        .value_kind:     hidden_block_count_x
      - .offset:         3172
        .size:           4
        .value_kind:     hidden_block_count_y
      - .offset:         3176
        .size:           4
        .value_kind:     hidden_block_count_z
      - .offset:         3180
        .size:           2
        .value_kind:     hidden_group_size_x
      - .offset:         3182
        .size:           2
        .value_kind:     hidden_group_size_y
      - .offset:         3184
        .size:           2
        .value_kind:     hidden_group_size_z
      - .offset:         3186
        .size:           2
        .value_kind:     hidden_remainder_x
      - .offset:         3188
        .size:           2
        .value_kind:     hidden_remainder_y
      - .offset:         3190
        .size:           2
        .value_kind:     hidden_remainder_z
      - .offset:         3208
        .size:           8
        .value_kind:     hidden_global_offset_x
      - .offset:         3216
        .size:           8
        .value_kind:     hidden_global_offset_y
      - .offset:         3224
        .size:           8
        .value_kind:     hidden_global_offset_z
      - .offset:         3232
        .size:           2
        .value_kind:     hidden_grid_dims
    .group_segment_fixed_size: 0
    .kernarg_segment_align: 8
    .kernarg_segment_size: 3424
    .language:       OpenCL C
    .language_version:
      - 2
      - 0
    .max_flat_workgroup_size: 512
    .name:           _ZN2at6native12_GLOBAL__N_125multi_tensor_apply_kernelINS1_18TensorListMetadataILi2EEENS1_27BinaryOpScalarTensorFunctorIaLi2ELi1ELi1EEEJSt7dividesIaEPaaEEEvT_T0_DpT1_
    .private_segment_fixed_size: 0
    .sgpr_count:     23
    .sgpr_spill_count: 0
    .symbol:         _ZN2at6native12_GLOBAL__N_125multi_tensor_apply_kernelINS1_18TensorListMetadataILi2EEENS1_27BinaryOpScalarTensorFunctorIaLi2ELi1ELi1EEEJSt7dividesIaEPaaEEEvT_T0_DpT1_.kd
    .uniform_work_group_size: 1
    .uses_dynamic_stack: false
    .vgpr_count:     31
    .vgpr_spill_count: 0
    .wavefront_size: 32
    .workgroup_processor_mode: 1
  - .args:
      - .offset:         0
        .size:           3144
        .value_kind:     by_value
      - .offset:         3144
        .size:           1
        .value_kind:     by_value
      - .offset:         3145
        .size:           1
        .value_kind:     by_value
      - .address_space:  global
        .offset:         3152
        .size:           8
        .value_kind:     global_buffer
      - .offset:         3160
        .size:           4
        .value_kind:     by_value
      - .offset:         3168
        .size:           4
        .value_kind:     hidden_block_count_x
      - .offset:         3172
        .size:           4
        .value_kind:     hidden_block_count_y
      - .offset:         3176
        .size:           4
        .value_kind:     hidden_block_count_z
      - .offset:         3180
        .size:           2
        .value_kind:     hidden_group_size_x
      - .offset:         3182
        .size:           2
        .value_kind:     hidden_group_size_y
      - .offset:         3184
        .size:           2
        .value_kind:     hidden_group_size_z
      - .offset:         3186
        .size:           2
        .value_kind:     hidden_remainder_x
      - .offset:         3188
        .size:           2
        .value_kind:     hidden_remainder_y
      - .offset:         3190
        .size:           2
        .value_kind:     hidden_remainder_z
      - .offset:         3208
        .size:           8
        .value_kind:     hidden_global_offset_x
      - .offset:         3216
        .size:           8
        .value_kind:     hidden_global_offset_y
      - .offset:         3224
        .size:           8
        .value_kind:     hidden_global_offset_z
      - .offset:         3232
        .size:           2
        .value_kind:     hidden_grid_dims
    .group_segment_fixed_size: 0
    .kernarg_segment_align: 8
    .kernarg_segment_size: 3424
    .language:       OpenCL C
    .language_version:
      - 2
      - 0
    .max_flat_workgroup_size: 512
    .name:           _ZN2at6native12_GLOBAL__N_125multi_tensor_apply_kernelINS1_18TensorListMetadataILi2EEENS1_27BinaryOpScalarTensorFunctorIiLi2ELi1ELi1EEEJSt7dividesIiEPiiEEEvT_T0_DpT1_
    .private_segment_fixed_size: 0
    .sgpr_count:     27
    .sgpr_spill_count: 0
    .symbol:         _ZN2at6native12_GLOBAL__N_125multi_tensor_apply_kernelINS1_18TensorListMetadataILi2EEENS1_27BinaryOpScalarTensorFunctorIiLi2ELi1ELi1EEEJSt7dividesIiEPiiEEEvT_T0_DpT1_.kd
    .uniform_work_group_size: 1
    .uses_dynamic_stack: false
    .vgpr_count:     32
    .vgpr_spill_count: 0
    .wavefront_size: 32
    .workgroup_processor_mode: 1
  - .args:
      - .offset:         0
        .size:           3144
        .value_kind:     by_value
      - .offset:         3144
        .size:           1
        .value_kind:     by_value
      - .offset:         3145
        .size:           1
        .value_kind:     by_value
      - .address_space:  global
        .offset:         3152
        .size:           8
        .value_kind:     global_buffer
      - .offset:         3160
        .size:           8
        .value_kind:     by_value
      - .offset:         3168
        .size:           4
        .value_kind:     hidden_block_count_x
      - .offset:         3172
        .size:           4
        .value_kind:     hidden_block_count_y
      - .offset:         3176
        .size:           4
        .value_kind:     hidden_block_count_z
      - .offset:         3180
        .size:           2
        .value_kind:     hidden_group_size_x
      - .offset:         3182
        .size:           2
        .value_kind:     hidden_group_size_y
      - .offset:         3184
        .size:           2
        .value_kind:     hidden_group_size_z
      - .offset:         3186
        .size:           2
        .value_kind:     hidden_remainder_x
      - .offset:         3188
        .size:           2
        .value_kind:     hidden_remainder_y
      - .offset:         3190
        .size:           2
        .value_kind:     hidden_remainder_z
      - .offset:         3208
        .size:           8
        .value_kind:     hidden_global_offset_x
      - .offset:         3216
        .size:           8
        .value_kind:     hidden_global_offset_y
      - .offset:         3224
        .size:           8
        .value_kind:     hidden_global_offset_z
      - .offset:         3232
        .size:           2
        .value_kind:     hidden_grid_dims
    .group_segment_fixed_size: 0
    .kernarg_segment_align: 8
    .kernarg_segment_size: 3424
    .language:       OpenCL C
    .language_version:
      - 2
      - 0
    .max_flat_workgroup_size: 512
    .name:           _ZN2at6native12_GLOBAL__N_125multi_tensor_apply_kernelINS1_18TensorListMetadataILi2EEENS1_27BinaryOpScalarTensorFunctorIlLi2ELi1ELi1EEEJSt7dividesIlEPllEEEvT_T0_DpT1_
    .private_segment_fixed_size: 0
    .sgpr_count:     42
    .sgpr_spill_count: 0
    .symbol:         _ZN2at6native12_GLOBAL__N_125multi_tensor_apply_kernelINS1_18TensorListMetadataILi2EEENS1_27BinaryOpScalarTensorFunctorIlLi2ELi1ELi1EEEJSt7dividesIlEPllEEEvT_T0_DpT1_.kd
    .uniform_work_group_size: 1
    .uses_dynamic_stack: false
    .vgpr_count:     41
    .vgpr_spill_count: 0
    .wavefront_size: 32
    .workgroup_processor_mode: 1
  - .args:
      - .offset:         0
        .size:           3144
        .value_kind:     by_value
      - .offset:         3144
        .size:           1
        .value_kind:     by_value
      - .offset:         3145
        .size:           1
        .value_kind:     by_value
      - .address_space:  global
        .offset:         3152
        .size:           8
        .value_kind:     global_buffer
      - .offset:         3160
        .size:           2
        .value_kind:     by_value
      - .offset:         3168
        .size:           4
        .value_kind:     hidden_block_count_x
      - .offset:         3172
        .size:           4
        .value_kind:     hidden_block_count_y
      - .offset:         3176
        .size:           4
        .value_kind:     hidden_block_count_z
      - .offset:         3180
        .size:           2
        .value_kind:     hidden_group_size_x
      - .offset:         3182
        .size:           2
        .value_kind:     hidden_group_size_y
      - .offset:         3184
        .size:           2
        .value_kind:     hidden_group_size_z
      - .offset:         3186
        .size:           2
        .value_kind:     hidden_remainder_x
      - .offset:         3188
        .size:           2
        .value_kind:     hidden_remainder_y
      - .offset:         3190
        .size:           2
        .value_kind:     hidden_remainder_z
      - .offset:         3208
        .size:           8
        .value_kind:     hidden_global_offset_x
      - .offset:         3216
        .size:           8
        .value_kind:     hidden_global_offset_y
      - .offset:         3224
        .size:           8
        .value_kind:     hidden_global_offset_z
      - .offset:         3232
        .size:           2
        .value_kind:     hidden_grid_dims
    .group_segment_fixed_size: 0
    .kernarg_segment_align: 8
    .kernarg_segment_size: 3424
    .language:       OpenCL C
    .language_version:
      - 2
      - 0
    .max_flat_workgroup_size: 512
    .name:           _ZN2at6native12_GLOBAL__N_125multi_tensor_apply_kernelINS1_18TensorListMetadataILi2EEENS1_27BinaryOpScalarTensorFunctorIsLi2ELi1ELi1EEEJSt7dividesIsEPssEEEvT_T0_DpT1_
    .private_segment_fixed_size: 0
    .sgpr_count:     26
    .sgpr_spill_count: 0
    .symbol:         _ZN2at6native12_GLOBAL__N_125multi_tensor_apply_kernelINS1_18TensorListMetadataILi2EEENS1_27BinaryOpScalarTensorFunctorIsLi2ELi1ELi1EEEJSt7dividesIsEPssEEEvT_T0_DpT1_.kd
    .uniform_work_group_size: 1
    .uses_dynamic_stack: false
    .vgpr_count:     34
    .vgpr_spill_count: 0
    .wavefront_size: 32
    .workgroup_processor_mode: 1
  - .args:
      - .offset:         0
        .size:           3144
        .value_kind:     by_value
      - .offset:         3144
        .size:           1
        .value_kind:     by_value
      - .offset:         3145
        .size:           1
        .value_kind:     by_value
      - .address_space:  global
        .offset:         3152
        .size:           8
        .value_kind:     global_buffer
      - .offset:         3160
        .size:           8
        .value_kind:     by_value
      - .offset:         3168
        .size:           4
        .value_kind:     hidden_block_count_x
      - .offset:         3172
        .size:           4
        .value_kind:     hidden_block_count_y
      - .offset:         3176
        .size:           4
        .value_kind:     hidden_block_count_z
      - .offset:         3180
        .size:           2
        .value_kind:     hidden_group_size_x
      - .offset:         3182
        .size:           2
        .value_kind:     hidden_group_size_y
      - .offset:         3184
        .size:           2
        .value_kind:     hidden_group_size_z
      - .offset:         3186
        .size:           2
        .value_kind:     hidden_remainder_x
      - .offset:         3188
        .size:           2
        .value_kind:     hidden_remainder_y
      - .offset:         3190
        .size:           2
        .value_kind:     hidden_remainder_z
      - .offset:         3208
        .size:           8
        .value_kind:     hidden_global_offset_x
      - .offset:         3216
        .size:           8
        .value_kind:     hidden_global_offset_y
      - .offset:         3224
        .size:           8
        .value_kind:     hidden_global_offset_z
      - .offset:         3232
        .size:           2
        .value_kind:     hidden_grid_dims
    .group_segment_fixed_size: 0
    .kernarg_segment_align: 8
    .kernarg_segment_size: 3424
    .language:       OpenCL C
    .language_version:
      - 2
      - 0
    .max_flat_workgroup_size: 512
    .name:           _ZN2at6native12_GLOBAL__N_125multi_tensor_apply_kernelINS1_18TensorListMetadataILi2EEENS1_27BinaryOpScalarTensorFunctorIdLi2ELi1ELi1EEEJSt7dividesIdEPddEEEvT_T0_DpT1_
    .private_segment_fixed_size: 0
    .sgpr_count:     26
    .sgpr_spill_count: 0
    .symbol:         _ZN2at6native12_GLOBAL__N_125multi_tensor_apply_kernelINS1_18TensorListMetadataILi2EEENS1_27BinaryOpScalarTensorFunctorIdLi2ELi1ELi1EEEJSt7dividesIdEPddEEEvT_T0_DpT1_.kd
    .uniform_work_group_size: 1
    .uses_dynamic_stack: false
    .vgpr_count:     49
    .vgpr_spill_count: 0
    .wavefront_size: 32
    .workgroup_processor_mode: 1
  - .args:
      - .offset:         0
        .size:           3144
        .value_kind:     by_value
      - .offset:         3144
        .size:           1
        .value_kind:     by_value
      - .offset:         3145
        .size:           1
        .value_kind:     by_value
      - .address_space:  global
        .offset:         3152
        .size:           8
        .value_kind:     global_buffer
      - .offset:         3160
        .size:           4
        .value_kind:     by_value
      - .offset:         3168
        .size:           4
        .value_kind:     hidden_block_count_x
      - .offset:         3172
        .size:           4
        .value_kind:     hidden_block_count_y
      - .offset:         3176
        .size:           4
        .value_kind:     hidden_block_count_z
      - .offset:         3180
        .size:           2
        .value_kind:     hidden_group_size_x
      - .offset:         3182
        .size:           2
        .value_kind:     hidden_group_size_y
      - .offset:         3184
        .size:           2
        .value_kind:     hidden_group_size_z
      - .offset:         3186
        .size:           2
        .value_kind:     hidden_remainder_x
      - .offset:         3188
        .size:           2
        .value_kind:     hidden_remainder_y
      - .offset:         3190
        .size:           2
        .value_kind:     hidden_remainder_z
      - .offset:         3208
        .size:           8
        .value_kind:     hidden_global_offset_x
      - .offset:         3216
        .size:           8
        .value_kind:     hidden_global_offset_y
      - .offset:         3224
        .size:           8
        .value_kind:     hidden_global_offset_z
      - .offset:         3232
        .size:           2
        .value_kind:     hidden_grid_dims
    .group_segment_fixed_size: 0
    .kernarg_segment_align: 8
    .kernarg_segment_size: 3424
    .language:       OpenCL C
    .language_version:
      - 2
      - 0
    .max_flat_workgroup_size: 512
    .name:           _ZN2at6native12_GLOBAL__N_125multi_tensor_apply_kernelINS1_18TensorListMetadataILi2EEENS1_27BinaryOpScalarTensorFunctorIfLi2ELi1ELi1EEEJSt7dividesIfEPffEEEvT_T0_DpT1_
    .private_segment_fixed_size: 0
    .sgpr_count:     26
    .sgpr_spill_count: 0
    .symbol:         _ZN2at6native12_GLOBAL__N_125multi_tensor_apply_kernelINS1_18TensorListMetadataILi2EEENS1_27BinaryOpScalarTensorFunctorIfLi2ELi1ELi1EEEJSt7dividesIfEPffEEEvT_T0_DpT1_.kd
    .uniform_work_group_size: 1
    .uses_dynamic_stack: false
    .vgpr_count:     34
    .vgpr_spill_count: 0
    .wavefront_size: 32
    .workgroup_processor_mode: 1
  - .args:
      - .offset:         0
        .size:           3144
        .value_kind:     by_value
      - .offset:         3144
        .size:           1
        .value_kind:     by_value
      - .offset:         3145
        .size:           1
        .value_kind:     by_value
      - .address_space:  global
        .offset:         3152
        .size:           8
        .value_kind:     global_buffer
      - .offset:         3168
        .size:           16
        .value_kind:     by_value
      - .offset:         3184
        .size:           4
        .value_kind:     hidden_block_count_x
      - .offset:         3188
        .size:           4
        .value_kind:     hidden_block_count_y
      - .offset:         3192
        .size:           4
        .value_kind:     hidden_block_count_z
      - .offset:         3196
        .size:           2
        .value_kind:     hidden_group_size_x
      - .offset:         3198
        .size:           2
        .value_kind:     hidden_group_size_y
      - .offset:         3200
        .size:           2
        .value_kind:     hidden_group_size_z
      - .offset:         3202
        .size:           2
        .value_kind:     hidden_remainder_x
      - .offset:         3204
        .size:           2
        .value_kind:     hidden_remainder_y
      - .offset:         3206
        .size:           2
        .value_kind:     hidden_remainder_z
      - .offset:         3224
        .size:           8
        .value_kind:     hidden_global_offset_x
      - .offset:         3232
        .size:           8
        .value_kind:     hidden_global_offset_y
      - .offset:         3240
        .size:           8
        .value_kind:     hidden_global_offset_z
      - .offset:         3248
        .size:           2
        .value_kind:     hidden_grid_dims
    .group_segment_fixed_size: 0
    .kernarg_segment_align: 16
    .kernarg_segment_size: 3440
    .language:       OpenCL C
    .language_version:
      - 2
      - 0
    .max_flat_workgroup_size: 512
    .name:           _ZN2at6native12_GLOBAL__N_125multi_tensor_apply_kernelINS1_18TensorListMetadataILi2EEENS1_27BinaryOpScalarTensorFunctorIN3c107complexIdEELi2ELi1ELi1EEEJSt7dividesIS8_EPS8_S8_EEEvT_T0_DpT1_
    .private_segment_fixed_size: 0
    .sgpr_count:     31
    .sgpr_spill_count: 0
    .symbol:         _ZN2at6native12_GLOBAL__N_125multi_tensor_apply_kernelINS1_18TensorListMetadataILi2EEENS1_27BinaryOpScalarTensorFunctorIN3c107complexIdEELi2ELi1ELi1EEEJSt7dividesIS8_EPS8_S8_EEEvT_T0_DpT1_.kd
    .uniform_work_group_size: 1
    .uses_dynamic_stack: false
    .vgpr_count:     56
    .vgpr_spill_count: 0
    .wavefront_size: 32
    .workgroup_processor_mode: 1
  - .args:
      - .offset:         0
        .size:           3144
        .value_kind:     by_value
      - .offset:         3144
        .size:           1
        .value_kind:     by_value
      - .offset:         3145
        .size:           1
        .value_kind:     by_value
      - .address_space:  global
        .offset:         3152
        .size:           8
        .value_kind:     global_buffer
      - .offset:         3160
        .size:           8
        .value_kind:     by_value
      - .offset:         3168
        .size:           4
        .value_kind:     hidden_block_count_x
      - .offset:         3172
        .size:           4
        .value_kind:     hidden_block_count_y
      - .offset:         3176
        .size:           4
        .value_kind:     hidden_block_count_z
      - .offset:         3180
        .size:           2
        .value_kind:     hidden_group_size_x
      - .offset:         3182
        .size:           2
        .value_kind:     hidden_group_size_y
      - .offset:         3184
        .size:           2
        .value_kind:     hidden_group_size_z
      - .offset:         3186
        .size:           2
        .value_kind:     hidden_remainder_x
      - .offset:         3188
        .size:           2
        .value_kind:     hidden_remainder_y
      - .offset:         3190
        .size:           2
        .value_kind:     hidden_remainder_z
      - .offset:         3208
        .size:           8
        .value_kind:     hidden_global_offset_x
      - .offset:         3216
        .size:           8
        .value_kind:     hidden_global_offset_y
      - .offset:         3224
        .size:           8
        .value_kind:     hidden_global_offset_z
      - .offset:         3232
        .size:           2
        .value_kind:     hidden_grid_dims
    .group_segment_fixed_size: 0
    .kernarg_segment_align: 8
    .kernarg_segment_size: 3424
    .language:       OpenCL C
    .language_version:
      - 2
      - 0
    .max_flat_workgroup_size: 512
    .name:           _ZN2at6native12_GLOBAL__N_125multi_tensor_apply_kernelINS1_18TensorListMetadataILi2EEENS1_27BinaryOpScalarTensorFunctorIN3c107complexIfEELi2ELi1ELi1EEEJSt7dividesIS8_EPS8_S8_EEEvT_T0_DpT1_
    .private_segment_fixed_size: 0
    .sgpr_count:     31
    .sgpr_spill_count: 0
    .symbol:         _ZN2at6native12_GLOBAL__N_125multi_tensor_apply_kernelINS1_18TensorListMetadataILi2EEENS1_27BinaryOpScalarTensorFunctorIN3c107complexIfEELi2ELi1ELi1EEEJSt7dividesIS8_EPS8_S8_EEEvT_T0_DpT1_.kd
    .uniform_work_group_size: 1
    .uses_dynamic_stack: false
    .vgpr_count:     33
    .vgpr_spill_count: 0
    .wavefront_size: 32
    .workgroup_processor_mode: 1
  - .args:
      - .offset:         0
        .size:           3144
        .value_kind:     by_value
      - .offset:         3144
        .size:           1
        .value_kind:     by_value
      - .offset:         3145
        .size:           1
        .value_kind:     by_value
      - .address_space:  global
        .offset:         3152
        .size:           8
        .value_kind:     global_buffer
      - .offset:         3160
        .size:           1
        .value_kind:     by_value
      - .offset:         3168
        .size:           4
        .value_kind:     hidden_block_count_x
      - .offset:         3172
        .size:           4
        .value_kind:     hidden_block_count_y
      - .offset:         3176
        .size:           4
        .value_kind:     hidden_block_count_z
      - .offset:         3180
        .size:           2
        .value_kind:     hidden_group_size_x
      - .offset:         3182
        .size:           2
        .value_kind:     hidden_group_size_y
      - .offset:         3184
        .size:           2
        .value_kind:     hidden_group_size_z
      - .offset:         3186
        .size:           2
        .value_kind:     hidden_remainder_x
      - .offset:         3188
        .size:           2
        .value_kind:     hidden_remainder_y
      - .offset:         3190
        .size:           2
        .value_kind:     hidden_remainder_z
      - .offset:         3208
        .size:           8
        .value_kind:     hidden_global_offset_x
      - .offset:         3216
        .size:           8
        .value_kind:     hidden_global_offset_y
      - .offset:         3224
        .size:           8
        .value_kind:     hidden_global_offset_z
      - .offset:         3232
        .size:           2
        .value_kind:     hidden_grid_dims
    .group_segment_fixed_size: 0
    .kernarg_segment_align: 8
    .kernarg_segment_size: 3424
    .language:       OpenCL C
    .language_version:
      - 2
      - 0
    .max_flat_workgroup_size: 512
    .name:           _ZN2at6native12_GLOBAL__N_125multi_tensor_apply_kernelINS1_18TensorListMetadataILi2EEENS1_27BinaryOpScalarTensorFunctorIbLi2ELi1ELi1EEEJSt7dividesIbEPbbEEEvT_T0_DpT1_
    .private_segment_fixed_size: 0
    .sgpr_count:     19
    .sgpr_spill_count: 0
    .symbol:         _ZN2at6native12_GLOBAL__N_125multi_tensor_apply_kernelINS1_18TensorListMetadataILi2EEENS1_27BinaryOpScalarTensorFunctorIbLi2ELi1ELi1EEEJSt7dividesIbEPbbEEEvT_T0_DpT1_.kd
    .uniform_work_group_size: 1
    .uses_dynamic_stack: false
    .vgpr_count:     28
    .vgpr_spill_count: 0
    .wavefront_size: 32
    .workgroup_processor_mode: 1
  - .args:
      - .offset:         0
        .size:           3144
        .value_kind:     by_value
      - .offset:         3144
        .size:           1
        .value_kind:     by_value
      - .offset:         3145
        .size:           1
        .value_kind:     by_value
      - .address_space:  global
        .offset:         3152
        .size:           8
        .value_kind:     global_buffer
      - .offset:         3160
        .size:           4
        .value_kind:     by_value
      - .offset:         3168
        .size:           4
        .value_kind:     hidden_block_count_x
      - .offset:         3172
        .size:           4
        .value_kind:     hidden_block_count_y
      - .offset:         3176
        .size:           4
        .value_kind:     hidden_block_count_z
      - .offset:         3180
        .size:           2
        .value_kind:     hidden_group_size_x
      - .offset:         3182
        .size:           2
        .value_kind:     hidden_group_size_y
      - .offset:         3184
        .size:           2
        .value_kind:     hidden_group_size_z
      - .offset:         3186
        .size:           2
        .value_kind:     hidden_remainder_x
      - .offset:         3188
        .size:           2
        .value_kind:     hidden_remainder_y
      - .offset:         3190
        .size:           2
        .value_kind:     hidden_remainder_z
      - .offset:         3208
        .size:           8
        .value_kind:     hidden_global_offset_x
      - .offset:         3216
        .size:           8
        .value_kind:     hidden_global_offset_y
      - .offset:         3224
        .size:           8
        .value_kind:     hidden_global_offset_z
      - .offset:         3232
        .size:           2
        .value_kind:     hidden_grid_dims
    .group_segment_fixed_size: 0
    .kernarg_segment_align: 8
    .kernarg_segment_size: 3424
    .language:       OpenCL C
    .language_version:
      - 2
      - 0
    .max_flat_workgroup_size: 512
    .name:           _ZN2at6native12_GLOBAL__N_125multi_tensor_apply_kernelINS1_18TensorListMetadataILi2EEENS1_27BinaryOpScalarTensorFunctorIN3c104HalfELi2ELi1ELi1EEEJSt7dividesIfEPS7_fEEEvT_T0_DpT1_
    .private_segment_fixed_size: 0
    .sgpr_count:     26
    .sgpr_spill_count: 0
    .symbol:         _ZN2at6native12_GLOBAL__N_125multi_tensor_apply_kernelINS1_18TensorListMetadataILi2EEENS1_27BinaryOpScalarTensorFunctorIN3c104HalfELi2ELi1ELi1EEEJSt7dividesIfEPS7_fEEEvT_T0_DpT1_.kd
    .uniform_work_group_size: 1
    .uses_dynamic_stack: false
    .vgpr_count:     34
    .vgpr_spill_count: 0
    .wavefront_size: 32
    .workgroup_processor_mode: 1
  - .args:
      - .offset:         0
        .size:           3144
        .value_kind:     by_value
      - .offset:         3144
        .size:           1
        .value_kind:     by_value
      - .offset:         3145
        .size:           1
        .value_kind:     by_value
      - .address_space:  global
        .offset:         3152
        .size:           8
        .value_kind:     global_buffer
      - .offset:         3160
        .size:           4
        .value_kind:     by_value
      - .offset:         3168
        .size:           4
        .value_kind:     hidden_block_count_x
      - .offset:         3172
        .size:           4
        .value_kind:     hidden_block_count_y
      - .offset:         3176
        .size:           4
        .value_kind:     hidden_block_count_z
      - .offset:         3180
        .size:           2
        .value_kind:     hidden_group_size_x
      - .offset:         3182
        .size:           2
        .value_kind:     hidden_group_size_y
      - .offset:         3184
        .size:           2
        .value_kind:     hidden_group_size_z
      - .offset:         3186
        .size:           2
        .value_kind:     hidden_remainder_x
      - .offset:         3188
        .size:           2
        .value_kind:     hidden_remainder_y
      - .offset:         3190
        .size:           2
        .value_kind:     hidden_remainder_z
      - .offset:         3208
        .size:           8
        .value_kind:     hidden_global_offset_x
      - .offset:         3216
        .size:           8
        .value_kind:     hidden_global_offset_y
      - .offset:         3224
        .size:           8
        .value_kind:     hidden_global_offset_z
      - .offset:         3232
        .size:           2
        .value_kind:     hidden_grid_dims
    .group_segment_fixed_size: 0
    .kernarg_segment_align: 8
    .kernarg_segment_size: 3424
    .language:       OpenCL C
    .language_version:
      - 2
      - 0
    .max_flat_workgroup_size: 512
    .name:           _ZN2at6native12_GLOBAL__N_125multi_tensor_apply_kernelINS1_18TensorListMetadataILi2EEENS1_27BinaryOpScalarTensorFunctorIN3c108BFloat16ELi2ELi1ELi1EEEJSt7dividesIfEPS7_fEEEvT_T0_DpT1_
    .private_segment_fixed_size: 0
    .sgpr_count:     26
    .sgpr_spill_count: 0
    .symbol:         _ZN2at6native12_GLOBAL__N_125multi_tensor_apply_kernelINS1_18TensorListMetadataILi2EEENS1_27BinaryOpScalarTensorFunctorIN3c108BFloat16ELi2ELi1ELi1EEEJSt7dividesIfEPS7_fEEEvT_T0_DpT1_.kd
    .uniform_work_group_size: 1
    .uses_dynamic_stack: false
    .vgpr_count:     34
    .vgpr_spill_count: 0
    .wavefront_size: 32
    .workgroup_processor_mode: 1
amdhsa.target:   amdgcn-amd-amdhsa--gfx1201
amdhsa.version:
  - 1
  - 2
...

	.end_amdgpu_metadata
